;; amdgpu-corpus repo=ROCm/rocFFT kind=compiled arch=gfx950 opt=O3
	.text
	.amdgcn_target "amdgcn-amd-amdhsa--gfx950"
	.amdhsa_code_object_version 6
	.protected	bluestein_single_fwd_len2880_dim1_sp_op_CI_CI ; -- Begin function bluestein_single_fwd_len2880_dim1_sp_op_CI_CI
	.globl	bluestein_single_fwd_len2880_dim1_sp_op_CI_CI
	.p2align	8
	.type	bluestein_single_fwd_len2880_dim1_sp_op_CI_CI,@function
bluestein_single_fwd_len2880_dim1_sp_op_CI_CI: ; @bluestein_single_fwd_len2880_dim1_sp_op_CI_CI
; %bb.0:
	s_load_dwordx4 s[12:15], s[0:1], 0x28
	v_mul_u32_u24_e32 v1, 0x2ab, v0
	v_add_u32_sdwa v240, s2, v1 dst_sel:DWORD dst_unused:UNUSED_PAD src0_sel:DWORD src1_sel:WORD_1
	v_mov_b32_e32 v241, 0
	s_waitcnt lgkmcnt(0)
	v_cmp_gt_u64_e32 vcc, s[12:13], v[240:241]
	s_and_saveexec_b64 s[2:3], vcc
	s_cbranch_execz .LBB0_2
; %bb.1:
	s_load_dwordx4 s[4:7], s[0:1], 0x0
	s_load_dwordx4 s[8:11], s[0:1], 0x18
	s_load_dwordx2 s[2:3], s[0:1], 0x38
	s_movk_i32 s0, 0x60
	v_mul_lo_u16_sdwa v1, v1, s0 dst_sel:DWORD dst_unused:UNUSED_PAD src0_sel:WORD_1 src1_sel:DWORD
	s_mov_b32 s0, 0
	v_mov_b32_e32 v181, s0
	s_waitcnt lgkmcnt(0)
	v_mov_b32_e32 v4, s2
	v_mov_b32_e32 v5, s3
	s_load_dwordx4 s[0:3], s[10:11], 0x0
	v_accvgpr_write_b32 a15, v5
	v_accvgpr_write_b32 a14, v4
	v_sub_u16_e32 v180, v0, v1
	v_mov_b32_e32 v2, s14
	s_waitcnt lgkmcnt(0)
	v_mad_u64_u32 v[4:5], s[10:11], s2, v240, 0
	s_load_dwordx4 s[8:11], s[8:9], 0x0
	v_mov_b32_e32 v0, v5
	v_mad_u64_u32 v[0:1], s[2:3], s3, v240, v[0:1]
	v_mov_b32_e32 v5, v0
	v_accvgpr_write_b32 a27, v5
	s_waitcnt lgkmcnt(0)
	v_mad_u64_u32 v[0:1], s[2:3], s10, v240, 0
	v_accvgpr_write_b32 a26, v4
	v_mov_b32_e32 v4, v1
	v_mad_u64_u32 v[4:5], s[2:3], s11, v240, v[4:5]
	v_mov_b32_e32 v1, v4
	v_mad_u64_u32 v[4:5], s[2:3], s8, v180, 0
	v_mov_b32_e32 v6, v5
	v_mov_b32_e32 v3, s15
	v_mad_u64_u32 v[6:7], s[2:3], s9, v180, v[6:7]
	v_mov_b32_e32 v5, v6
	v_lshl_add_u64 v[2:3], v[0:1], 3, v[2:3]
	v_lshl_add_u64 v[4:5], v[4:5], 3, v[2:3]
	v_lshlrev_b32_e32 v240, 3, v180
	global_load_dwordx2 v[6:7], v[4:5], off
	global_load_dwordx2 v[8:9], v240, s[4:5]
	s_mov_b64 s[2:3], 0x120
	v_mov_b32_e32 v200, 0x900
	v_lshl_add_u64 v[116:117], v[180:181], 0, s[2:3]
	v_mad_u64_u32 v[4:5], s[2:3], s8, v200, v[4:5]
	s_mul_i32 s2, s9, 0x900
	s_nop 0
	v_add_u32_e32 v5, s2, v5
	v_lshl_add_u64 v[0:1], s[4:5], 0, v[240:241]
	s_movk_i32 s18, 0x2000
	s_mul_i32 s3, s9, 0x1200
	s_movk_i32 s19, 0x3000
	v_or_b32_e32 v19, 0x900, v180
	v_mov_b32_e32 v18, 0x1200
	s_movk_i32 s20, 0x5000
	s_add_u32 s16, s4, 0x5a00
	v_accvgpr_write_b32 a16, v19
	s_addc_u32 s17, s5, 0
	v_or_b32_e32 v32, 0xa80, v180
	v_accvgpr_write_b32 a0, v32
	v_add_u32_e32 v242, 0x800, v240
	v_add_u32_e32 v247, 0x4800, v240
	;; [unrolled: 1-line block ×9, first 2 shown]
	s_waitcnt vmcnt(0)
	v_accvgpr_write_b32 a45, v9
	v_mul_f32_e32 v10, v7, v9
	v_fmac_f32_e32 v10, v6, v8
	v_mul_f32_e32 v6, v6, v9
	v_fma_f32 v11, v7, v8, -v6
	global_load_dwordx2 v[6:7], v[4:5], off
	global_load_dwordx2 v[12:13], v240, s[4:5] offset:2304
	v_accvgpr_write_b32 a44, v8
	v_mad_u64_u32 v[4:5], s[10:11], s8, v200, v[4:5]
	s_movk_i32 s11, 0x1000
	v_add_u32_e32 v5, s2, v5
	s_mul_i32 s10, s9, 0xffffb200
	s_sub_i32 s10, s10, s8
	s_waitcnt vmcnt(0)
	v_mul_f32_e32 v8, v7, v13
	v_fmac_f32_e32 v8, v6, v12
	v_mul_f32_e32 v6, v6, v13
	v_accvgpr_write_b32 a43, v13
	v_fma_f32 v9, v7, v12, -v6
	v_accvgpr_write_b32 a42, v12
	v_add_co_u32_e32 v12, vcc, s11, v0
	global_load_dwordx2 v[6:7], v[4:5], off
	s_nop 0
	v_addc_co_u32_e32 v13, vcc, 0, v1, vcc
	global_load_dwordx2 v[14:15], v[12:13], off offset:512
	ds_write_b64 v240, v[8:9] offset:2304
	v_mad_u64_u32 v[4:5], s[12:13], s8, v200, v[4:5]
	v_add_u32_e32 v5, s2, v5
	s_waitcnt vmcnt(0)
	v_mul_f32_e32 v8, v7, v15
	v_fmac_f32_e32 v8, v6, v14
	v_mul_f32_e32 v6, v6, v15
	v_fma_f32 v9, v7, v14, -v6
	v_accvgpr_write_b32 a41, v15
	ds_write_b64 v240, v[8:9] offset:4608
	v_accvgpr_write_b32 a40, v14
	global_load_dwordx2 v[6:7], v[4:5], off
	global_load_dwordx2 v[14:15], v[12:13], off offset:2816
	s_waitcnt vmcnt(0)
	v_mul_f32_e32 v8, v7, v15
	v_fmac_f32_e32 v8, v6, v14
	v_mul_f32_e32 v6, v6, v15
	v_accvgpr_write_b32 a39, v15
	v_fma_f32 v9, v7, v14, -v6
	v_accvgpr_write_b32 a38, v14
	v_or_b32_e32 v14, 0x480, v180
	v_mad_u64_u32 v[6:7], s[12:13], s8, v14, 0
	ds_write_b64 v240, v[8:9] offset:6912
	v_mov_b32_e32 v8, v7
	v_mad_u64_u32 v[8:9], s[12:13], s9, v14, v[8:9]
	v_mov_b32_e32 v7, v8
	v_lshl_add_u64 v[6:7], v[6:7], 3, v[2:3]
	v_lshlrev_b32_e32 v8, 3, v14
	global_load_dwordx2 v[6:7], v[6:7], off
	v_mov_b32_e32 v176, v14
	global_load_dwordx2 v[14:15], v8, s[4:5]
	v_accvgpr_write_b32 a107, v8
	v_accvgpr_write_b32 a71, v176
	s_waitcnt vmcnt(0)
	v_accvgpr_write_b32 a33, v15
	v_mul_f32_e32 v8, v7, v15
	v_fmac_f32_e32 v8, v6, v14
	v_mul_f32_e32 v6, v6, v15
	v_fma_f32 v9, v7, v14, -v6
	v_mov_b32_e32 v6, 0x1200
	ds_write_b64 v240, v[8:9] offset:9216
	v_mad_u64_u32 v[4:5], s[12:13], s8, v6, v[4:5]
	v_add_co_u32_e32 v8, vcc, s18, v0
	v_add_u32_e32 v5, s3, v5
	s_nop 0
	v_addc_co_u32_e32 v9, vcc, 0, v1, vcc
	global_load_dwordx2 v[6:7], v[4:5], off
	global_load_dwordx2 v[16:17], v[8:9], off offset:3328
	v_accvgpr_write_b32 a32, v14
	v_mad_u64_u32 v[4:5], s[12:13], s8, v200, v[4:5]
	v_add_u32_e32 v5, s2, v5
	s_waitcnt vmcnt(0)
	v_mul_f32_e32 v14, v7, v17
	v_fmac_f32_e32 v14, v6, v16
	v_mul_f32_e32 v6, v6, v17
	v_fma_f32 v15, v7, v16, -v6
	v_add_co_u32_e32 v6, vcc, s19, v0
	ds_write_b64 v240, v[14:15] offset:11520
	s_nop 0
	v_addc_co_u32_e32 v7, vcc, 0, v1, vcc
	global_load_dwordx2 v[14:15], v[4:5], off
	global_load_dwordx2 v[20:21], v[6:7], off offset:1536
	v_accvgpr_write_b32 a37, v17
	v_accvgpr_write_b32 a36, v16
	v_mad_u64_u32 v[4:5], s[12:13], s8, v200, v[4:5]
	v_add_u32_e32 v5, s2, v5
	s_waitcnt vmcnt(0)
	v_mul_f32_e32 v16, v15, v21
	v_fmac_f32_e32 v16, v14, v20
	v_mul_f32_e32 v14, v14, v21
	v_fma_f32 v17, v15, v20, -v14
	v_accvgpr_write_b32 a29, v21
	ds_write_b64 v240, v[16:17] offset:13824
	v_accvgpr_write_b32 a28, v20
	global_load_dwordx2 v[14:15], v[4:5], off
	global_load_dwordx2 v[20:21], v[6:7], off offset:3840
	s_waitcnt vmcnt(0)
	v_mul_f32_e32 v16, v15, v21
	v_fmac_f32_e32 v16, v14, v20
	v_mul_f32_e32 v14, v14, v21
	v_fma_f32 v17, v15, v20, -v14
	v_mad_u64_u32 v[14:15], s[12:13], s8, v19, 0
	ds_write_b64 v240, v[16:17] offset:16128
	v_mov_b32_e32 v16, v15
	v_mad_u64_u32 v[16:17], s[12:13], s9, v19, v[16:17]
	v_mov_b32_e32 v15, v16
	v_accvgpr_write_b32 a23, v21
	v_lshl_add_u64 v[14:15], v[14:15], 3, v[2:3]
	v_lshlrev_b32_e32 v16, 3, v19
	v_accvgpr_write_b32 a22, v20
	global_load_dwordx2 v[14:15], v[14:15], off
	v_accvgpr_write_b32 a113, v16
	global_load_dwordx2 v[20:21], v16, s[4:5]
	s_waitcnt vmcnt(0)
	v_accvgpr_write_b32 a18, v20
	v_mul_f32_e32 v16, v15, v21
	v_fmac_f32_e32 v16, v14, v20
	v_mul_f32_e32 v14, v14, v21
	v_fma_f32 v17, v15, v20, -v14
	v_mad_u64_u32 v[14:15], s[12:13], s8, v18, v[4:5]
	v_add_co_u32_e32 v4, vcc, s20, v0
	v_add_u32_e32 v15, s3, v15
	s_nop 0
	v_addc_co_u32_e32 v5, vcc, 0, v1, vcc
	v_accvgpr_write_b32 a19, v21
	ds_write_b64 v240, v[16:17] offset:18432
	global_load_dwordx2 v[16:17], v[14:15], off
	global_load_dwordx2 v[20:21], v[4:5], off offset:256
	s_mov_b64 s[12:13], 0x60
	v_lshl_add_u64 v[76:77], v[180:181], 0, s[12:13]
	s_waitcnt vmcnt(0)
	v_mul_f32_e32 v18, v17, v21
	v_fmac_f32_e32 v18, v16, v20
	v_mul_f32_e32 v16, v16, v21
	v_fma_f32 v19, v17, v20, -v16
	v_mov_b32_e32 v16, 0xffffb200
	v_mad_u64_u32 v[14:15], s[12:13], s8, v16, v[14:15]
	v_accvgpr_write_b32 a10, v20
	ds_write_b64 v240, v[18:19] offset:20736
	v_add_u32_e32 v15, s10, v15
	v_accvgpr_write_b32 a11, v21
	global_load_dwordx2 v[16:17], v[14:15], off
	global_load_dwordx2 v[20:21], v240, s[4:5] offset:768
	s_mul_i32 s10, s9, 0xffffbb00
	s_sub_i32 s10, s10, s8
	s_waitcnt vmcnt(0)
	v_mul_f32_e32 v18, v17, v21
	v_fmac_f32_e32 v18, v16, v20
	v_mul_f32_e32 v16, v16, v21
	v_fma_f32 v19, v17, v20, -v16
	ds_write2_b64 v240, v[10:11], v[18:19] offset1:96
	v_or_b32_e32 v18, 0x180, v180
	v_mad_u64_u32 v[10:11], s[12:13], s8, v18, 0
	v_mov_b32_e32 v16, v11
	v_mad_u64_u32 v[16:17], s[12:13], s9, v18, v[16:17]
	v_mov_b32_e32 v11, v16
	v_lshl_add_u64 v[10:11], v[10:11], 3, v[2:3]
	v_mov_b32_e32 v77, v18
	global_load_dwordx2 v[16:17], v[10:11], off
	global_load_dwordx2 v[18:19], v240, s[4:5] offset:3072
	s_mov_b64 s[12:13], 0x2a0
	v_lshl_add_u64 v[114:115], v[180:181], 0, s[12:13]
	v_accvgpr_write_b32 a47, v21
	v_accvgpr_write_b32 a46, v20
	;; [unrolled: 1-line block ×3, first 2 shown]
	s_waitcnt vmcnt(0)
	v_mul_f32_e32 v26, v17, v19
	v_fmac_f32_e32 v26, v16, v18
	v_mul_f32_e32 v10, v16, v19
	v_mov_b32_e32 v16, 0x1200
	v_fma_f32 v27, v17, v18, -v10
	v_mad_u64_u32 v[10:11], s[12:13], s8, v16, v[14:15]
	v_accvgpr_write_b32 a35, v19
	v_add_u32_e32 v11, s3, v11
	v_accvgpr_write_b32 a34, v18
	global_load_dwordx2 v[14:15], v[10:11], off
	global_load_dwordx2 v[18:19], v[12:13], off offset:1280
	v_mad_u64_u32 v[10:11], s[12:13], s8, v200, v[10:11]
	v_add_u32_e32 v11, s2, v11
	v_or_b32_e32 v17, 0x600, v180
	v_accvgpr_write_b32 a1, v17
	s_waitcnt vmcnt(0)
	v_mul_f32_e32 v24, v15, v19
	v_fmac_f32_e32 v24, v14, v18
	v_mul_f32_e32 v14, v14, v19
	v_accvgpr_write_b32 a31, v19
	v_fma_f32 v25, v15, v18, -v14
	v_accvgpr_write_b32 a30, v18
	global_load_dwordx2 v[14:15], v[10:11], off
	global_load_dwordx2 v[18:19], v[12:13], off offset:3584
	v_mad_u64_u32 v[10:11], s[12:13], s8, v200, v[10:11]
	v_add_u32_e32 v11, s2, v11
	s_waitcnt vmcnt(0)
	v_mul_f32_e32 v22, v15, v19
	v_mul_f32_e32 v12, v14, v19
	v_fmac_f32_e32 v22, v14, v18
	v_fma_f32 v23, v15, v18, -v12
	global_load_dwordx2 v[12:13], v[10:11], off
	global_load_dwordx2 v[14:15], v[8:9], off offset:1792
	v_accvgpr_write_b32 a25, v19
	v_accvgpr_write_b32 a24, v18
	v_lshlrev_b32_e32 v18, 3, v17
	v_accvgpr_write_b32 a109, v18
	v_mad_u64_u32 v[10:11], s[12:13], s8, v16, v[10:11]
	v_add_u32_e32 v11, s3, v11
	s_waitcnt vmcnt(0)
	v_mul_f32_e32 v20, v13, v15
	v_fmac_f32_e32 v20, v12, v14
	v_mul_f32_e32 v12, v12, v15
	v_fma_f32 v21, v13, v14, -v12
	v_accvgpr_write_b32 a21, v15
	v_mad_u64_u32 v[12:13], s[12:13], s8, v17, 0
	v_accvgpr_write_b32 a20, v14
	v_mov_b32_e32 v14, v13
	v_mad_u64_u32 v[14:15], s[12:13], s9, v17, v[14:15]
	v_mov_b32_e32 v13, v14
	v_lshl_add_u64 v[12:13], v[12:13], 3, v[2:3]
	global_load_dwordx2 v[12:13], v[12:13], off
	s_nop 0
	global_load_dwordx2 v[14:15], v18, s[4:5]
	s_waitcnt vmcnt(0)
	v_mul_f32_e32 v18, v13, v15
	v_fmac_f32_e32 v18, v12, v14
	v_mul_f32_e32 v12, v12, v15
	v_fma_f32 v19, v13, v14, -v12
	global_load_dwordx2 v[12:13], v[10:11], off
	global_load_dwordx2 v[16:17], v[6:7], off offset:2304
	v_accvgpr_write_b32 a12, v14
	v_accvgpr_write_b32 a13, v15
	s_waitcnt vmcnt(0)
	v_mul_f32_e32 v14, v13, v17
	v_fmac_f32_e32 v14, v12, v16
	v_mul_f32_e32 v12, v12, v17
	v_fma_f32 v15, v13, v16, -v12
	v_mad_u64_u32 v[12:13], s[12:13], s8, v200, v[10:11]
	s_movk_i32 s13, 0x4000
	s_nop 0
	v_add_co_u32_e32 v10, vcc, s13, v0
	v_add_u32_e32 v13, s2, v13
	s_nop 0
	v_addc_co_u32_e32 v11, vcc, 0, v1, vcc
	global_load_dwordx2 v[28:29], v[12:13], off
	global_load_dwordx2 v[30:31], v[10:11], off offset:512
	v_accvgpr_write_b32 a8, v16
	v_accvgpr_write_b32 a9, v17
	s_mov_b32 s12, 0x3f737871
	v_cmp_gt_u16_e32 vcc, 60, v180
	s_mov_b32 s21, s12
	s_waitcnt vmcnt(0)
	v_mul_f32_e32 v16, v29, v31
	v_mul_f32_e32 v0, v28, v31
	v_fmac_f32_e32 v16, v28, v30
	v_fma_f32 v17, v29, v30, -v0
	v_mad_u64_u32 v[28:29], s[14:15], s8, v200, v[12:13]
	v_accvgpr_write_b32 a6, v30
	v_add_u32_e32 v29, s2, v29
	v_accvgpr_write_b32 a7, v31
	global_load_dwordx2 v[0:1], v[28:29], off
	global_load_dwordx2 v[30:31], v[10:11], off offset:2816
	s_waitcnt vmcnt(0)
	v_mul_f32_e32 v12, v1, v31
	v_fmac_f32_e32 v12, v0, v30
	v_mul_f32_e32 v0, v0, v31
	v_fma_f32 v13, v1, v30, -v0
	v_accvgpr_write_b32 a4, v30
	v_mad_u64_u32 v[0:1], s[14:15], s8, v32, 0
	v_accvgpr_write_b32 a5, v31
	v_mov_b32_e32 v30, v1
	v_mad_u64_u32 v[30:31], s[14:15], s9, v32, v[30:31]
	v_mov_b32_e32 v1, v30
	v_lshl_add_u64 v[0:1], v[0:1], 3, v[2:3]
	global_load_dwordx2 v[30:31], v[0:1], off
	v_lshlrev_b32_e32 v0, 3, v32
	global_load_dwordx2 v[32:33], v0, s[4:5]
	v_accvgpr_write_b32 a111, v0
	s_mov_b64 s[14:15], 0xc0
	v_lshl_add_u64 v[78:79], v[180:181], 0, s[14:15]
	s_waitcnt vmcnt(0)
	v_mul_f32_e32 v0, v31, v33
	v_fmac_f32_e32 v0, v30, v32
	v_mul_f32_e32 v1, v30, v33
	v_mov_b32_e32 v30, 0xffffbb00
	v_mad_u64_u32 v[28:29], s[14:15], s8, v30, v[28:29]
	v_add_u32_e32 v29, s10, v29
	v_fma_f32 v1, v31, v32, -v1
	global_load_dwordx2 v[30:31], v[28:29], off
	global_load_dwordx2 v[34:35], v240, s[4:5] offset:1536
	v_accvgpr_write_b32 a2, v32
	v_accvgpr_write_b32 a3, v33
	v_mad_u64_u32 v[28:29], s[14:15], s8, v200, v[28:29]
	v_add_u32_e32 v29, s2, v29
	s_mov_b32 s10, 0x3e9e377a
	s_waitcnt vmcnt(0)
	v_mul_f32_e32 v32, v31, v35
	v_fmac_f32_e32 v32, v30, v34
	v_mul_f32_e32 v30, v30, v35
	v_fma_f32 v33, v31, v34, -v30
	v_accvgpr_write_b32 a55, v35
	ds_write_b64 v240, v[32:33] offset:1536
	v_accvgpr_write_b32 a54, v34
	global_load_dwordx2 v[30:31], v[28:29], off
	global_load_dwordx2 v[34:35], v240, s[4:5] offset:3840
	s_waitcnt vmcnt(0)
	v_mul_f32_e32 v32, v31, v35
	v_fmac_f32_e32 v32, v30, v34
	v_mul_f32_e32 v30, v30, v35
	v_fma_f32 v33, v31, v34, -v30
	ds_write2_b64 v242, v[26:27], v[32:33] offset0:128 offset1:224
	v_or_b32_e32 v32, 0x300, v180
	v_mad_u64_u32 v[26:27], s[14:15], s8, v32, 0
	v_mov_b32_e32 v30, v27
	v_mad_u64_u32 v[30:31], s[14:15], s9, v32, v[30:31]
	v_mov_b32_e32 v27, v30
	v_lshl_add_u64 v[26:27], v[26:27], 3, v[2:3]
	v_lshlrev_b32_e32 v30, 3, v32
	global_load_dwordx2 v[26:27], v[26:27], off
	v_mov_b32_e32 v177, v32
	global_load_dwordx2 v[32:33], v30, s[4:5]
	v_accvgpr_write_b32 a115, v30
	s_mov_b64 s[14:15], 0x420
	v_lshl_add_u64 v[118:119], v[180:181], 0, s[14:15]
	v_accvgpr_write_b32 a53, v35
	v_accvgpr_write_b32 a52, v34
	v_add_u32_e32 v119, 0x540, v180
	v_accvgpr_write_b32 a69, v177
	s_waitcnt vmcnt(0)
	v_mul_f32_e32 v30, v27, v33
	v_fmac_f32_e32 v30, v26, v32
	v_mul_f32_e32 v26, v26, v33
	v_accvgpr_write_b32 a51, v33
	v_fma_f32 v31, v27, v32, -v26
	v_accvgpr_write_b32 a50, v32
	v_add_u32_e32 v26, 0x1400, v240
	v_mov_b32_e32 v32, 0x1200
	ds_write2_b64 v26, v[24:25], v[30:31] offset0:32 offset1:128
	v_mad_u64_u32 v[24:25], s[14:15], s8, v32, v[28:29]
	v_add_u32_e32 v25, s3, v25
	v_mov_b32_e32 v194, v26
	global_load_dwordx2 v[26:27], v[24:25], off
	global_load_dwordx2 v[30:31], v[8:9], off offset:256
	s_waitcnt vmcnt(0)
	v_mul_f32_e32 v28, v27, v31
	v_fmac_f32_e32 v28, v26, v30
	v_mul_f32_e32 v26, v26, v31
	v_fma_f32 v29, v27, v30, -v26
	v_add_u32_e32 v26, 0x1c00, v240
	ds_write2_b64 v26, v[22:23], v[28:29] offset0:64 offset1:160
	v_mad_u64_u32 v[22:23], s[14:15], s8, v200, v[24:25]
	v_add_u32_e32 v23, s2, v23
	v_mov_b32_e32 v196, v26
	global_load_dwordx2 v[24:25], v[22:23], off
	global_load_dwordx2 v[26:27], v[8:9], off offset:2560
	v_accvgpr_write_b32 a49, v31
	v_accvgpr_write_b32 a48, v30
	s_waitcnt vmcnt(0)
	v_mul_f32_e32 v8, v25, v27
	v_mul_f32_e32 v9, v24, v27
	v_fmac_f32_e32 v8, v24, v26
	v_fma_f32 v9, v25, v26, -v9
	v_add_u32_e32 v24, 0x2400, v240
	ds_write2_b64 v24, v[20:21], v[8:9] offset0:96 offset1:192
	v_mad_u64_u32 v[8:9], s[14:15], s8, v200, v[22:23]
	v_add_u32_e32 v9, s2, v9
	global_load_dwordx2 v[20:21], v[8:9], off
	global_load_dwordx2 v[22:23], v[6:7], off offset:768
	v_accvgpr_write_b32 a57, v27
	v_accvgpr_write_b32 a56, v26
	v_mov_b32_e32 v197, v24
	s_waitcnt vmcnt(0)
	v_mul_f32_e32 v6, v21, v23
	v_mul_f32_e32 v7, v20, v23
	v_fmac_f32_e32 v6, v20, v22
	v_fma_f32 v7, v21, v22, -v7
	v_add_u32_e32 v20, 0x3000, v240
	ds_write2_b64 v20, v[18:19], v[6:7] offset1:96
	v_mov_b32_e32 v191, v20
	v_or_b32_e32 v20, 0x780, v180
	v_mad_u64_u32 v[6:7], s[14:15], s8, v20, 0
	v_mov_b32_e32 v18, v7
	v_mad_u64_u32 v[18:19], s[14:15], s9, v20, v[18:19]
	v_mov_b32_e32 v7, v18
	v_lshl_add_u64 v[2:3], v[6:7], 3, v[2:3]
	v_lshlrev_b32_e32 v6, 3, v20
	global_load_dwordx2 v[2:3], v[2:3], off
	v_accvgpr_write_b32 a139, v6
	global_load_dwordx2 v[18:19], v6, s[4:5]
	v_accvgpr_write_b32 a65, v23
	v_accvgpr_write_b32 a64, v22
	;; [unrolled: 1-line block ×3, first 2 shown]
	s_mov_b32 s14, 0x3f4f1bbd
	s_waitcnt vmcnt(0)
	v_mul_f32_e32 v6, v3, v19
	v_fmac_f32_e32 v6, v2, v18
	v_mul_f32_e32 v2, v2, v19
	v_fma_f32 v7, v3, v18, -v2
	v_add_u32_e32 v2, 0x3800, v240
	ds_write2_b64 v2, v[14:15], v[6:7] offset0:32 offset1:128
	v_mov_b32_e32 v244, v2
	v_mad_u64_u32 v[2:3], s[4:5], s8, v32, v[8:9]
	v_add_u32_e32 v3, s3, v3
	global_load_dwordx2 v[6:7], v[2:3], off
	global_load_dwordx2 v[14:15], v[10:11], off offset:1280
	v_mad_u64_u32 v[2:3], s[4:5], s8, v200, v[2:3]
	v_add_u32_e32 v3, s2, v3
	v_accvgpr_write_b32 a63, v19
	v_accvgpr_write_b32 a62, v18
	s_waitcnt vmcnt(0)
	v_mul_f32_e32 v8, v7, v15
	v_fmac_f32_e32 v8, v6, v14
	v_mul_f32_e32 v6, v6, v15
	v_fma_f32 v9, v7, v14, -v6
	v_add_u32_e32 v6, 0x4000, v240
	v_accvgpr_write_b32 a61, v15
	ds_write2_b64 v6, v[16:17], v[8:9] offset0:64 offset1:160
	v_accvgpr_write_b32 a60, v14
	v_mov_b32_e32 v195, v6
	global_load_dwordx2 v[6:7], v[2:3], off
	global_load_dwordx2 v[14:15], v[10:11], off offset:3584
	s_waitcnt vmcnt(0)
	v_mul_f32_e32 v8, v7, v15
	v_fmac_f32_e32 v8, v6, v14
	v_mul_f32_e32 v6, v6, v15
	v_fma_f32 v9, v7, v14, -v6
	v_mad_u64_u32 v[6:7], s[4:5], s8, v200, v[2:3]
	ds_write2_b64 v247, v[12:13], v[8:9] offset0:96 offset1:192
	v_add_u32_e32 v7, s2, v7
	global_load_dwordx2 v[2:3], v[6:7], off
	global_load_dwordx2 v[8:9], v[4:5], off offset:1792
	v_accvgpr_write_b32 a59, v15
	v_accvgpr_write_b32 a58, v14
	s_mov_b32 s8, 0x3f167918
	s_mov_b32 s2, 0xbf167918
	;; [unrolled: 1-line block ×5, first 2 shown]
	s_waitcnt vmcnt(0)
	v_mul_f32_e32 v4, v3, v9
	v_fmac_f32_e32 v4, v2, v8
	v_mul_f32_e32 v2, v2, v9
	v_fma_f32 v5, v3, v8, -v2
	ds_write2_b64 v245, v[0:1], v[4:5] offset0:128 offset1:224
	v_mul_lo_u16_e32 v0, 10, v180
	v_lshlrev_b32_e32 v99, 3, v0
	v_mul_u32_u24_e32 v0, 10, v76
	v_lshlrev_b32_e32 v98, 3, v0
	v_add_u32_e32 v0, 0x1000, v240
	s_waitcnt lgkmcnt(0)
	s_barrier
	ds_read2_b64 v[24:27], v240 offset1:96
	ds_read2_b64 v[16:19], v242 offset0:128 offset1:224
	ds_read2_b64 v[28:31], v0 offset0:64 offset1:160
	v_mov_b32_e32 v255, v0
	v_add_u32_e32 v0, 0x2000, v240
	ds_read2_b64 v[32:35], v0 offset0:128 offset1:224
	v_mov_b32_e32 v202, v0
	v_add_u32_e32 v0, 0x3400, v240
	v_accvgpr_write_b32 a67, v9
	ds_read2_b64 v[36:39], v0 offset0:64 offset1:160
	v_accvgpr_write_b32 a66, v8
	ds_read2_b64 v[4:7], v196 offset0:64 offset1:160
	ds_read2_b64 v[12:15], v191 offset1:96
	v_mov_b32_e32 v203, v0
	ds_read2_b64 v[0:3], v195 offset0:64 offset1:160
	ds_read2_b64 v[40:43], v247 offset1:96
	ds_read2_b64 v[8:11], v245 offset0:128 offset1:224
	s_waitcnt lgkmcnt(7)
	v_pk_add_f32 v[20:21], v[26:27], v[30:31]
	s_waitcnt lgkmcnt(5)
	v_pk_add_f32 v[22:23], v[34:35], v[38:39]
	v_pk_add_f32 v[20:21], v[20:21], v[34:35]
	s_waitcnt lgkmcnt(1)
	v_pk_add_f32 v[44:45], v[30:31], v[42:43] neg_lo:[0,1] neg_hi:[0,1]
	v_pk_fma_f32 v[22:23], v[22:23], 0.5, v[26:27] op_sel_hi:[1,0,1] neg_lo:[1,0,0] neg_hi:[1,0,0]
	v_pk_mul_f32 v[50:51], v[44:45], s[12:13] op_sel_hi:[1,0]
	v_pk_add_f32 v[52:53], v[34:35], v[38:39] neg_lo:[0,1] neg_hi:[0,1]
	v_pk_add_f32 v[56:57], v[30:31], v[34:35] neg_lo:[0,1] neg_hi:[0,1]
	;; [unrolled: 1-line block ×3, first 2 shown]
	v_pk_add_f32 v[20:21], v[20:21], v[38:39]
	v_pk_mul_f32 v[54:55], v[52:53], s[8:9] op_sel_hi:[1,0]
	v_pk_add_f32 v[56:57], v[56:57], v[58:59]
	v_pk_add_f32 v[58:59], v[22:23], v[50:51] op_sel:[0,1] op_sel_hi:[1,0]
	v_pk_add_f32 v[46:47], v[20:21], v[42:43]
	v_pk_add_f32 v[22:23], v[22:23], v[50:51] op_sel:[0,1] op_sel_hi:[1,0] neg_lo:[0,1] neg_hi:[0,1]
	v_pk_add_f32 v[50:51], v[58:59], v[54:55] op_sel:[0,1] op_sel_hi:[1,0]
	v_pk_add_f32 v[58:59], v[30:31], v[42:43]
	v_pk_add_f32 v[30:31], v[34:35], v[30:31] neg_lo:[0,1] neg_hi:[0,1]
	v_pk_add_f32 v[34:35], v[38:39], v[42:43] neg_lo:[0,1] neg_hi:[0,1]
	;; [unrolled: 1-line block ×3, first 2 shown]
	s_waitcnt lgkmcnt(0)
	v_pk_add_f32 v[42:43], v[4:5], v[8:9]
	v_pk_fma_f32 v[26:27], v[58:59], 0.5, v[26:27] op_sel_hi:[1,0,1] neg_lo:[1,0,0] neg_hi:[1,0,0]
	v_pk_add_f32 v[30:31], v[30:31], v[34:35]
	v_pk_add_f32 v[34:35], v[4:5], v[8:9] neg_lo:[0,1] neg_hi:[0,1]
	v_pk_fma_f32 v[42:43], v[42:43], 0.5, v[16:17] op_sel_hi:[1,0,1] neg_lo:[1,0,0] neg_hi:[1,0,0]
	v_pk_mul_f32 v[58:59], v[38:39], s[12:13] op_sel_hi:[1,0]
	v_pk_add_f32 v[62:63], v[12:13], v[4:5] neg_lo:[0,1] neg_hi:[0,1]
	v_pk_add_f32 v[64:65], v[0:1], v[8:9] neg_lo:[0,1] neg_hi:[0,1]
	v_pk_mul_f32 v[60:61], v[34:35], s[8:9] op_sel_hi:[1,0]
	v_pk_add_f32 v[62:63], v[62:63], v[64:65]
	v_pk_add_f32 v[64:65], v[42:43], v[58:59] op_sel:[0,1] op_sel_hi:[1,0] neg_lo:[0,1] neg_hi:[0,1]
	v_pk_add_f32 v[42:43], v[42:43], v[58:59] op_sel:[0,1] op_sel_hi:[1,0]
	v_pk_mul_f32 v[44:45], v[44:45], s[8:9] op_sel_hi:[1,0]
	v_pk_add_f32 v[58:59], v[42:43], v[60:61] op_sel:[0,1] op_sel_hi:[1,0] neg_lo:[0,1] neg_hi:[0,1]
	v_pk_add_f32 v[60:61], v[64:65], v[60:61] op_sel:[0,1] op_sel_hi:[1,0]
	v_mov_b32_e32 v43, v59
	v_mov_b32_e32 v42, v60
	v_pk_fma_f32 v[42:43], v[62:63], s[10:11], v[42:43] op_sel_hi:[1,0,1]
	v_pk_add_f32 v[20:21], v[16:17], v[4:5]
	v_pk_mul_f32 v[64:65], v[42:43], s[12:13] op_sel_hi:[1,0]
	v_pk_add_f32 v[20:21], v[20:21], v[12:13]
	v_pk_fma_f32 v[66:67], v[42:43], s[10:11], v[64:65] op_sel:[0,0,1] op_sel_hi:[1,0,0]
	v_pk_fma_f32 v[42:43], v[42:43], s[10:11], v[64:65] op_sel:[0,0,1] op_sel_hi:[1,0,0] neg_lo:[0,0,1] neg_hi:[0,0,1]
	v_pk_add_f32 v[20:21], v[20:21], v[0:1]
	v_mov_b32_e32 v67, v43
	v_pk_mul_f32 v[42:43], v[52:53], s[12:13] op_sel_hi:[1,0]
	v_pk_add_f32 v[22:23], v[22:23], v[54:55] op_sel:[0,1] op_sel_hi:[1,0] neg_lo:[0,1] neg_hi:[0,1]
	v_pk_add_f32 v[52:53], v[26:27], v[42:43] op_sel:[0,1] op_sel_hi:[1,0] neg_lo:[0,1] neg_hi:[0,1]
	v_pk_add_f32 v[26:27], v[26:27], v[42:43] op_sel:[0,1] op_sel_hi:[1,0]
	v_pk_add_f32 v[48:49], v[20:21], v[8:9]
	v_pk_add_f32 v[26:27], v[26:27], v[44:45] op_sel:[0,1] op_sel_hi:[1,0] neg_lo:[0,1] neg_hi:[0,1]
	v_pk_add_f32 v[44:45], v[52:53], v[44:45] op_sel:[0,1] op_sel_hi:[1,0]
	v_mov_b32_e32 v43, v27
	v_mov_b32_e32 v42, v44
	;; [unrolled: 1-line block ×3, first 2 shown]
	v_pk_fma_f32 v[52:53], v[30:31], s[10:11], v[42:43] op_sel_hi:[1,0,1]
	v_pk_fma_f32 v[30:31], v[30:31], s[10:11], v[26:27] op_sel_hi:[1,0,1]
	v_pk_add_f32 v[26:27], v[12:13], v[0:1]
	v_mov_b32_e32 v55, v23
	v_pk_fma_f32 v[16:17], v[26:27], 0.5, v[16:17] op_sel_hi:[1,0,1] neg_lo:[1,0,0] neg_hi:[1,0,0]
	v_pk_add_f32 v[4:5], v[4:5], v[12:13] neg_lo:[0,1] neg_hi:[0,1]
	v_pk_add_f32 v[0:1], v[8:9], v[0:1] neg_lo:[0,1] neg_hi:[0,1]
	v_mov_b32_e32 v23, v51
	v_pk_mul_f32 v[8:9], v[34:35], s[12:13] op_sel_hi:[1,0]
	v_pk_add_f32 v[0:1], v[4:5], v[0:1]
	v_pk_fma_f32 v[4:5], v[56:57], s[10:11], v[22:23] op_sel_hi:[1,0,1]
	v_pk_add_f32 v[12:13], v[16:17], v[8:9] op_sel:[0,1] op_sel_hi:[1,0]
	v_pk_mul_f32 v[22:23], v[38:39], s[8:9] op_sel_hi:[1,0]
	v_pk_add_f32 v[8:9], v[16:17], v[8:9] op_sel:[0,1] op_sel_hi:[1,0] neg_lo:[0,1] neg_hi:[0,1]
	v_pk_add_f32 v[12:13], v[22:23], v[12:13] op_sel:[1,0] op_sel_hi:[0,1]
	v_pk_add_f32 v[8:9], v[8:9], v[22:23] op_sel:[0,1] op_sel_hi:[1,0] neg_lo:[0,1] neg_hi:[0,1]
	v_pk_fma_f32 v[26:27], v[0:1], s[10:11], v[12:13] op_sel_hi:[1,0,1]
	v_pk_fma_f32 v[16:17], v[0:1], s[10:11], v[8:9] op_sel_hi:[1,0,1]
	v_mov_b32_e32 v9, v13
	v_pk_fma_f32 v[0:1], v[0:1], s[10:11], v[8:9] op_sel_hi:[1,0,1]
	s_mov_b32 s9, s14
	v_pk_mul_f32 v[8:9], v[0:1], s[14:15] op_sel_hi:[1,0]
	s_mov_b32 s15, s8
	v_pk_fma_f32 v[0:1], v[0:1], s[2:3], v[8:9] op_sel:[0,0,1] op_sel_hi:[1,1,0] neg_lo:[0,0,1] neg_hi:[0,0,1]
	v_pk_mul_f32 v[8:9], v[26:27], s[14:15] op_sel_hi:[0,1]
	v_mov_b32_e32 v54, v50
	v_mov_b32_e32 v59, v61
	v_pk_fma_f32 v[12:13], v[16:17], s[8:9], v[8:9] op_sel:[1,0,0]
	v_pk_fma_f32 v[8:9], v[16:17], s[8:9], v[8:9] op_sel:[1,0,0] neg_lo:[0,0,1] neg_hi:[0,0,1]
	v_pk_fma_f32 v[54:55], v[56:57], s[10:11], v[54:55] op_sel_hi:[1,0,1]
	v_pk_fma_f32 v[58:59], v[62:63], s[10:11], v[58:59] op_sel_hi:[1,0,1]
	v_mov_b32_e32 v13, v9
	v_pk_add_f32 v[20:21], v[46:47], v[48:49]
	v_pk_mul_f32 v[60:61], v[58:59], s[10:11] op_sel_hi:[1,0]
	v_pk_add_f32 v[22:23], v[54:55], v[12:13]
	v_pk_add_f32 v[16:17], v[4:5], v[0:1] op_sel:[1,0] op_sel_hi:[0,1]
	v_pk_add_f32 v[26:27], v[46:47], v[48:49] neg_lo:[0,1] neg_hi:[0,1]
	v_pk_add_f32 v[46:47], v[54:55], v[12:13] neg_lo:[0,1] neg_hi:[0,1]
	v_pk_add_f32 v[12:13], v[4:5], v[0:1] op_sel:[1,0] op_sel_hi:[0,1] neg_lo:[0,1] neg_hi:[0,1]
	v_mul_u32_u24_e32 v0, 10, v78
	v_pk_fma_f32 v[58:59], v[58:59], s[4:5], v[60:61] op_sel:[0,0,1] op_sel_hi:[1,1,0] neg_lo:[0,0,1] neg_hi:[0,0,1]
	v_lshlrev_b32_e32 v79, 3, v0
	v_add_u32_e32 v0, 0x2800, v240
	v_pk_add_f32 v[42:43], v[52:53], v[66:67]
	v_pk_add_f32 v[44:45], v[30:31], v[58:59] op_sel:[0,1] op_sel_hi:[1,0]
	v_pk_add_f32 v[48:49], v[52:53], v[66:67] neg_lo:[0,1] neg_hi:[0,1]
	v_pk_add_f32 v[30:31], v[30:31], v[58:59] op_sel:[0,1] op_sel_hi:[1,0] neg_lo:[0,1] neg_hi:[0,1]
	ds_read2_b64 v[54:57], v201 offset1:96
	ds_read2_b64 v[58:61], v0 offset0:64 offset1:160
	ds_read2_b64 v[62:65], v244 offset0:128 offset1:224
	ds_read2_b64 v[66:69], v246 offset0:64 offset1:160
	v_pk_add_f32 v[38:39], v[32:33], v[36:37]
	v_pk_add_f32 v[74:75], v[28:29], v[40:41] neg_lo:[0,1] neg_hi:[0,1]
	ds_read2_b64 v[50:53], v243 offset0:64 offset1:160
	v_pk_fma_f32 v[38:39], v[38:39], 0.5, v[24:25] op_sel_hi:[1,0,1] neg_lo:[1,0,0] neg_hi:[1,0,0]
	v_pk_mul_f32 v[80:81], v[74:75], s[12:13] op_sel_hi:[1,0]
	v_pk_add_f32 v[82:83], v[32:33], v[36:37] neg_lo:[0,1] neg_hi:[0,1]
	v_pk_add_f32 v[86:87], v[28:29], v[32:33] neg_lo:[0,1] neg_hi:[0,1]
	v_pk_add_f32 v[88:89], v[40:41], v[36:37] neg_lo:[0,1] neg_hi:[0,1]
	v_pk_add_f32 v[34:35], v[24:25], v[28:29]
	v_pk_mul_f32 v[84:85], v[82:83], s[8:9] op_sel_hi:[1,0]
	v_pk_add_f32 v[86:87], v[86:87], v[88:89]
	v_pk_add_f32 v[88:89], v[38:39], v[80:81] op_sel:[0,1] op_sel_hi:[1,0]
	v_pk_add_f32 v[38:39], v[38:39], v[80:81] op_sel:[0,1] op_sel_hi:[1,0] neg_lo:[0,1] neg_hi:[0,1]
	v_pk_add_f32 v[34:35], v[34:35], v[32:33]
	v_pk_add_f32 v[80:81], v[38:39], v[84:85] op_sel:[0,1] op_sel_hi:[1,0] neg_lo:[0,1] neg_hi:[0,1]
	v_pk_add_f32 v[84:85], v[88:89], v[84:85] op_sel:[0,1] op_sel_hi:[1,0]
	v_pk_add_f32 v[34:35], v[34:35], v[36:37]
	v_mov_b32_e32 v38, v84
	v_mov_b32_e32 v39, v81
	v_pk_add_f32 v[70:71], v[34:35], v[40:41]
	v_pk_fma_f32 v[88:89], v[86:87], s[10:11], v[38:39] op_sel_hi:[1,0,1]
	v_pk_add_f32 v[38:39], v[28:29], v[40:41]
	v_pk_add_f32 v[28:29], v[32:33], v[28:29] neg_lo:[0,1] neg_hi:[0,1]
	v_pk_add_f32 v[32:33], v[36:37], v[40:41] neg_lo:[0,1] neg_hi:[0,1]
	s_waitcnt lgkmcnt(2)
	v_pk_add_f32 v[40:41], v[60:61], v[64:65] neg_lo:[0,1] neg_hi:[0,1]
	s_waitcnt lgkmcnt(1)
	v_pk_add_f32 v[36:37], v[56:57], v[68:69]
	v_pk_fma_f32 v[24:25], v[38:39], 0.5, v[24:25] op_sel_hi:[1,0,1] neg_lo:[1,0,0] neg_hi:[1,0,0]
	v_pk_add_f32 v[28:29], v[28:29], v[32:33]
	v_pk_add_f32 v[32:33], v[56:57], v[68:69] neg_lo:[0,1] neg_hi:[0,1]
	s_waitcnt lgkmcnt(0)
	v_pk_fma_f32 v[36:37], v[36:37], 0.5, v[52:53] op_sel_hi:[1,0,1] neg_lo:[1,0,0] neg_hi:[1,0,0]
	v_pk_mul_f32 v[38:39], v[40:41], s[12:13] op_sel_hi:[1,0]
	v_pk_add_f32 v[92:93], v[60:61], v[56:57] neg_lo:[0,1] neg_hi:[0,1]
	v_pk_add_f32 v[94:95], v[64:65], v[68:69] neg_lo:[0,1] neg_hi:[0,1]
	v_pk_mul_f32 v[90:91], v[32:33], s[8:9] op_sel_hi:[1,0]
	v_pk_add_f32 v[92:93], v[92:93], v[94:95]
	v_pk_add_f32 v[94:95], v[36:37], v[38:39] op_sel:[0,1] op_sel_hi:[1,0] neg_lo:[0,1] neg_hi:[0,1]
	v_pk_add_f32 v[36:37], v[36:37], v[38:39] op_sel:[0,1] op_sel_hi:[1,0]
	v_pk_mul_f32 v[74:75], v[74:75], s[8:9] op_sel_hi:[1,0]
	v_pk_add_f32 v[38:39], v[36:37], v[90:91] op_sel:[0,1] op_sel_hi:[1,0] neg_lo:[0,1] neg_hi:[0,1]
	v_pk_add_f32 v[90:91], v[94:95], v[90:91] op_sel:[0,1] op_sel_hi:[1,0]
	v_mov_b32_e32 v37, v39
	v_mov_b32_e32 v36, v90
	v_pk_fma_f32 v[36:37], v[92:93], s[10:11], v[36:37] op_sel_hi:[1,0,1]
	v_mov_b32_e32 v39, v91
	v_pk_mul_f32 v[94:95], v[36:37], s[12:13] op_sel_hi:[1,0]
	v_pk_fma_f32 v[38:39], v[92:93], s[10:11], v[38:39] op_sel_hi:[1,0,1]
	v_pk_fma_f32 v[96:97], v[36:37], s[10:11], v[94:95] op_sel:[0,0,1] op_sel_hi:[1,0,0]
	v_pk_fma_f32 v[36:37], v[36:37], s[10:11], v[94:95] op_sel:[0,0,1] op_sel_hi:[1,0,0] neg_lo:[0,0,1] neg_hi:[0,0,1]
	v_pk_mul_f32 v[90:91], v[38:39], s[10:11] op_sel_hi:[1,0]
	v_mov_b32_e32 v97, v37
	v_pk_mul_f32 v[36:37], v[82:83], s[12:13] op_sel_hi:[1,0]
	v_pk_fma_f32 v[90:91], v[38:39], s[4:5], v[90:91] op_sel:[0,0,1] op_sel_hi:[1,1,0] neg_lo:[0,0,1] neg_hi:[0,0,1]
	v_pk_add_f32 v[82:83], v[24:25], v[36:37] op_sel:[0,1] op_sel_hi:[1,0] neg_lo:[0,1] neg_hi:[0,1]
	v_pk_add_f32 v[24:25], v[24:25], v[36:37] op_sel:[0,1] op_sel_hi:[1,0]
	v_pk_mul_f32 v[32:33], v[32:33], s[12:13] op_sel_hi:[1,0]
	v_pk_add_f32 v[24:25], v[24:25], v[74:75] op_sel:[0,1] op_sel_hi:[1,0] neg_lo:[0,1] neg_hi:[0,1]
	v_pk_add_f32 v[74:75], v[82:83], v[74:75] op_sel:[0,1] op_sel_hi:[1,0]
	v_mov_b32_e32 v37, v25
	v_mov_b32_e32 v36, v74
	;; [unrolled: 1-line block ×3, first 2 shown]
	v_pk_fma_f32 v[82:83], v[28:29], s[10:11], v[36:37] op_sel_hi:[1,0,1]
	v_pk_fma_f32 v[24:25], v[28:29], s[10:11], v[24:25] op_sel_hi:[1,0,1]
	v_pk_add_f32 v[28:29], v[60:61], v[64:65]
	v_pk_add_f32 v[36:37], v[82:83], v[96:97]
	v_pk_add_f32 v[38:39], v[24:25], v[90:91] op_sel:[0,1] op_sel_hi:[1,0]
	v_pk_fma_f32 v[28:29], v[28:29], 0.5, v[52:53] op_sel_hi:[1,0,1] neg_lo:[1,0,0] neg_hi:[1,0,0]
	v_pk_add_f32 v[34:35], v[52:53], v[56:57]
	s_barrier
	ds_write_b128 v99, v[36:39] offset:16
	v_pk_add_f32 v[36:37], v[56:57], v[60:61] neg_lo:[0,1] neg_hi:[0,1]
	v_pk_add_f32 v[38:39], v[68:69], v[64:65] neg_lo:[0,1] neg_hi:[0,1]
	v_pk_add_f32 v[52:53], v[28:29], v[32:33] op_sel:[0,1] op_sel_hi:[1,0]
	v_pk_mul_f32 v[40:41], v[40:41], s[8:9] op_sel_hi:[1,0]
	v_pk_add_f32 v[28:29], v[28:29], v[32:33] op_sel:[0,1] op_sel_hi:[1,0] neg_lo:[0,1] neg_hi:[0,1]
	v_pk_add_f32 v[36:37], v[36:37], v[38:39]
	v_pk_add_f32 v[52:53], v[40:41], v[52:53] op_sel:[1,0] op_sel_hi:[0,1]
	v_pk_add_f32 v[28:29], v[28:29], v[40:41] op_sel:[0,1] op_sel_hi:[1,0] neg_lo:[0,1] neg_hi:[0,1]
	v_pk_fma_f32 v[56:57], v[36:37], s[10:11], v[52:53] op_sel_hi:[1,0,1]
	v_pk_fma_f32 v[32:33], v[36:37], s[10:11], v[28:29] op_sel_hi:[1,0,1]
	v_mov_b32_e32 v29, v53
	v_pk_fma_f32 v[28:29], v[36:37], s[10:11], v[28:29] op_sel_hi:[1,0,1]
	v_pk_add_f32 v[34:35], v[34:35], v[60:61]
	v_pk_mul_f32 v[36:37], v[28:29], s[14:15] op_sel_hi:[1,0]
	v_pk_add_f32 v[34:35], v[34:35], v[64:65]
	v_pk_fma_f32 v[28:29], v[28:29], s[2:3], v[36:37] op_sel:[0,0,1] op_sel_hi:[1,1,0] neg_lo:[0,0,1] neg_hi:[0,0,1]
	v_pk_mul_f32 v[36:37], v[56:57], s[14:15] op_sel_hi:[0,1]
	v_mov_b32_e32 v81, v85
	v_pk_fma_f32 v[40:41], v[32:33], s[8:9], v[36:37] op_sel:[1,0,0]
	v_pk_fma_f32 v[32:33], v[32:33], s[8:9], v[36:37] op_sel:[1,0,0] neg_lo:[0,0,1] neg_hi:[0,0,1]
	v_pk_add_f32 v[72:73], v[34:35], v[68:69]
	v_pk_fma_f32 v[38:39], v[86:87], s[10:11], v[80:81] op_sel_hi:[1,0,1]
	v_mov_b32_e32 v41, v33
	v_pk_add_f32 v[34:35], v[70:71], v[72:73]
	v_pk_add_f32 v[36:37], v[88:89], v[40:41]
	v_pk_add_f32 v[52:53], v[38:39], v[28:29] op_sel:[1,0] op_sel_hi:[0,1]
	ds_write_b128 v99, v[34:37]
	v_pk_add_f32 v[34:35], v[70:71], v[72:73] neg_lo:[0,1] neg_hi:[0,1]
	v_mov_b32_e32 v32, v53
	v_mov_b32_e32 v33, v52
	ds_write_b128 v99, v[32:35] offset:32
	v_pk_add_f32 v[32:33], v[88:89], v[40:41] neg_lo:[0,1] neg_hi:[0,1]
	v_pk_add_f32 v[34:35], v[82:83], v[96:97] neg_lo:[0,1] neg_hi:[0,1]
	ds_write_b128 v99, v[32:35] offset:48
	v_pk_add_f32 v[32:33], v[24:25], v[90:91] op_sel:[0,1] op_sel_hi:[1,0] neg_lo:[0,1] neg_hi:[0,1]
	v_pk_add_f32 v[24:25], v[38:39], v[28:29] op_sel:[1,0] op_sel_hi:[0,1] neg_lo:[0,1] neg_hi:[0,1]
	v_mov_b32_e32 v34, v25
	v_mov_b32_e32 v35, v24
	;; [unrolled: 1-line block ×4, first 2 shown]
	ds_write_b128 v99, v[32:35] offset:64
	ds_write_b128 v98, v[42:45] offset:16
	ds_write_b128 v98, v[20:23]
	ds_write_b128 v98, v[24:27] offset:32
	ds_write_b128 v98, v[46:49] offset:48
	v_mov_b32_e32 v32, v13
	v_mov_b32_e32 v33, v12
	v_pk_add_f32 v[12:13], v[58:59], v[62:63]
	v_pk_add_f32 v[26:27], v[54:55], v[66:67] neg_lo:[0,1] neg_hi:[0,1]
	v_pk_fma_f32 v[12:13], v[12:13], 0.5, v[50:51] op_sel_hi:[1,0,1] neg_lo:[1,0,0] neg_hi:[1,0,0]
	v_pk_mul_f32 v[20:21], v[26:27], s[12:13] op_sel_hi:[1,0]
	v_pk_add_f32 v[28:29], v[58:59], v[62:63] neg_lo:[0,1] neg_hi:[0,1]
	v_pk_add_f32 v[16:17], v[54:55], v[58:59] neg_lo:[0,1] neg_hi:[0,1]
	;; [unrolled: 1-line block ×3, first 2 shown]
	v_pk_mul_f32 v[22:23], v[28:29], s[8:9] op_sel_hi:[1,0]
	v_pk_add_f32 v[16:17], v[16:17], v[24:25]
	v_pk_add_f32 v[24:25], v[12:13], v[20:21] op_sel:[0,1] op_sel_hi:[1,0]
	v_pk_add_f32 v[12:13], v[12:13], v[20:21] op_sel:[0,1] op_sel_hi:[1,0] neg_lo:[0,1] neg_hi:[0,1]
	ds_write_b128 v98, v[30:33] offset:64
	v_pk_add_f32 v[20:21], v[12:13], v[22:23] op_sel:[0,1] op_sel_hi:[1,0] neg_lo:[0,1] neg_hi:[0,1]
	v_pk_add_f32 v[22:23], v[24:25], v[22:23] op_sel:[0,1] op_sel_hi:[1,0]
	v_pk_add_f32 v[24:25], v[54:55], v[66:67]
	v_pk_add_f32 v[32:33], v[62:63], v[66:67] neg_lo:[0,1] neg_hi:[0,1]
	v_pk_fma_f32 v[30:31], v[24:25], 0.5, v[50:51] op_sel_hi:[1,0,1] neg_lo:[1,0,0] neg_hi:[1,0,0]
	v_pk_add_f32 v[24:25], v[58:59], v[54:55] neg_lo:[0,1] neg_hi:[0,1]
	v_pk_add_f32 v[34:35], v[6:7], v[10:11] neg_lo:[0,1] neg_hi:[0,1]
	v_pk_add_f32 v[38:39], v[24:25], v[32:33]
	v_pk_add_f32 v[32:33], v[14:15], v[2:3] neg_lo:[0,1] neg_hi:[0,1]
	v_pk_add_f32 v[24:25], v[6:7], v[10:11]
	v_pk_mul_f32 v[36:37], v[32:33], s[12:13] op_sel_hi:[1,0]
	v_pk_fma_f32 v[24:25], v[24:25], 0.5, v[18:19] op_sel_hi:[1,0,1] neg_lo:[1,0,0] neg_hi:[1,0,0]
	v_pk_add_f32 v[42:43], v[14:15], v[6:7] neg_lo:[0,1] neg_hi:[0,1]
	v_pk_add_f32 v[44:45], v[2:3], v[10:11] neg_lo:[0,1] neg_hi:[0,1]
	v_pk_mul_f32 v[40:41], v[34:35], s[8:9] op_sel_hi:[1,0]
	v_pk_add_f32 v[42:43], v[42:43], v[44:45]
	v_pk_add_f32 v[44:45], v[24:25], v[36:37] op_sel:[0,1] op_sel_hi:[1,0] neg_lo:[0,1] neg_hi:[0,1]
	v_pk_add_f32 v[24:25], v[24:25], v[36:37] op_sel:[0,1] op_sel_hi:[1,0]
	v_pk_mul_f32 v[28:29], v[28:29], s[12:13] op_sel_hi:[1,0]
	v_pk_add_f32 v[46:47], v[24:25], v[40:41] op_sel:[0,1] op_sel_hi:[1,0] neg_lo:[0,1] neg_hi:[0,1]
	v_pk_add_f32 v[40:41], v[44:45], v[40:41] op_sel:[0,1] op_sel_hi:[1,0]
	v_mov_b32_e32 v25, v47
	v_mov_b32_e32 v24, v40
	v_pk_fma_f32 v[36:37], v[42:43], s[10:11], v[24:25] op_sel_hi:[1,0,1]
	v_pk_mul_f32 v[26:27], v[26:27], s[8:9] op_sel_hi:[1,0]
	v_pk_mul_f32 v[44:45], v[36:37], s[12:13] op_sel_hi:[1,0]
	v_mov_b32_e32 v254, v0
	v_pk_fma_f32 v[24:25], v[36:37], s[10:11], v[44:45] op_sel:[0,0,1] op_sel_hi:[1,0,0]
	v_pk_fma_f32 v[36:37], v[36:37], s[10:11], v[44:45] op_sel:[0,0,1] op_sel_hi:[1,0,0] neg_lo:[0,0,1] neg_hi:[0,0,1]
	v_pk_add_f32 v[0:1], v[50:51], v[54:55]
	v_mov_b32_e32 v25, v37
	v_pk_add_f32 v[36:37], v[30:31], v[28:29] op_sel:[0,1] op_sel_hi:[1,0] neg_lo:[0,1] neg_hi:[0,1]
	v_pk_add_f32 v[28:29], v[30:31], v[28:29] op_sel:[0,1] op_sel_hi:[1,0]
	v_pk_add_f32 v[44:45], v[36:37], v[26:27] op_sel:[0,1] op_sel_hi:[1,0]
	v_pk_add_f32 v[28:29], v[28:29], v[26:27] op_sel:[0,1] op_sel_hi:[1,0] neg_lo:[0,1] neg_hi:[0,1]
	v_mov_b32_e32 v26, v44
	v_mov_b32_e32 v27, v29
	v_mov_b32_e32 v47, v41
	v_pk_add_f32 v[0:1], v[0:1], v[58:59]
	v_pk_fma_f32 v[30:31], v[38:39], s[10:11], v[26:27] op_sel_hi:[1,0,1]
	v_pk_fma_f32 v[26:27], v[42:43], s[10:11], v[46:47] op_sel_hi:[1,0,1]
	v_pk_add_f32 v[0:1], v[0:1], v[62:63]
	v_pk_mul_f32 v[40:41], v[26:27], s[10:11] op_sel_hi:[1,0]
	v_mov_b32_e32 v29, v45
	v_pk_add_f32 v[4:5], v[0:1], v[66:67]
	v_pk_add_f32 v[0:1], v[18:19], v[6:7]
	v_pk_fma_f32 v[26:27], v[26:27], s[4:5], v[40:41] op_sel:[0,0,1] op_sel_hi:[1,1,0] neg_lo:[0,0,1] neg_hi:[0,0,1]
	v_pk_fma_f32 v[28:29], v[38:39], s[10:11], v[28:29] op_sel_hi:[1,0,1]
	v_pk_add_f32 v[0:1], v[0:1], v[14:15]
	v_pk_add_f32 v[36:37], v[30:31], v[24:25]
	v_pk_add_f32 v[38:39], v[28:29], v[26:27] op_sel:[0,1] op_sel_hi:[1,0]
	v_pk_add_f32 v[0:1], v[0:1], v[2:3]
	ds_write_b128 v79, v[36:39] offset:16
	v_pk_add_f32 v[36:37], v[14:15], v[2:3]
	v_pk_add_f32 v[8:9], v[0:1], v[10:11]
	v_mov_b32_e32 v12, v22
	v_mov_b32_e32 v13, v21
	v_pk_fma_f32 v[18:19], v[36:37], 0.5, v[18:19] op_sel_hi:[1,0,1] neg_lo:[1,0,0] neg_hi:[1,0,0]
	v_pk_add_f32 v[6:7], v[6:7], v[14:15] neg_lo:[0,1] neg_hi:[0,1]
	v_pk_add_f32 v[2:3], v[10:11], v[2:3] neg_lo:[0,1] neg_hi:[0,1]
	v_mov_b32_e32 v21, v23
	v_pk_mul_f32 v[10:11], v[34:35], s[12:13] op_sel_hi:[1,0]
	v_pk_fma_f32 v[12:13], v[16:17], s[10:11], v[12:13] op_sel_hi:[1,0,1]
	v_pk_add_f32 v[2:3], v[6:7], v[2:3]
	v_pk_fma_f32 v[6:7], v[16:17], s[10:11], v[20:21] op_sel_hi:[1,0,1]
	v_pk_add_f32 v[14:15], v[18:19], v[10:11] op_sel:[0,1] op_sel_hi:[1,0]
	v_pk_mul_f32 v[16:17], v[32:33], s[8:9] op_sel_hi:[1,0]
	v_pk_add_f32 v[10:11], v[18:19], v[10:11] op_sel:[0,1] op_sel_hi:[1,0] neg_lo:[0,1] neg_hi:[0,1]
	v_pk_add_f32 v[14:15], v[16:17], v[14:15] op_sel:[1,0] op_sel_hi:[0,1]
	v_pk_add_f32 v[10:11], v[10:11], v[16:17] op_sel:[0,1] op_sel_hi:[1,0] neg_lo:[0,1] neg_hi:[0,1]
	v_pk_fma_f32 v[20:21], v[2:3], s[10:11], v[14:15] op_sel_hi:[1,0,1]
	v_pk_fma_f32 v[16:17], v[2:3], s[10:11], v[10:11] op_sel_hi:[1,0,1]
	v_mov_b32_e32 v11, v15
	v_pk_fma_f32 v[2:3], v[2:3], s[10:11], v[10:11] op_sel_hi:[1,0,1]
	v_pk_add_f32 v[0:1], v[4:5], v[8:9]
	v_pk_mul_f32 v[10:11], v[2:3], s[14:15] op_sel_hi:[1,0]
	s_movk_i32 s4, 0xcd
	v_pk_fma_f32 v[10:11], v[2:3], s[2:3], v[10:11] op_sel:[0,0,1] op_sel_hi:[1,1,0] neg_lo:[0,0,1] neg_hi:[0,0,1]
	v_pk_mul_f32 v[2:3], v[20:21], s[14:15] op_sel_hi:[0,1]
	v_pk_fma_f32 v[14:15], v[16:17], s[8:9], v[2:3] op_sel:[1,0,0]
	v_pk_fma_f32 v[2:3], v[16:17], s[8:9], v[2:3] op_sel:[1,0,0] neg_lo:[0,0,1] neg_hi:[0,0,1]
	v_pk_add_f32 v[16:17], v[6:7], v[10:11] op_sel:[1,0] op_sel_hi:[0,1]
	v_mov_b32_e32 v15, v3
	v_pk_add_f32 v[2:3], v[12:13], v[14:15]
	ds_write_b128 v79, v[0:3]
	v_pk_add_f32 v[2:3], v[4:5], v[8:9] neg_lo:[0,1] neg_hi:[0,1]
	v_mov_b32_e32 v0, v17
	v_mov_b32_e32 v1, v16
	ds_write_b128 v79, v[0:3] offset:32
	v_pk_add_f32 v[0:1], v[12:13], v[14:15] neg_lo:[0,1] neg_hi:[0,1]
	v_pk_add_f32 v[2:3], v[30:31], v[24:25] neg_lo:[0,1] neg_hi:[0,1]
	v_pk_add_f32 v[4:5], v[6:7], v[10:11] op_sel:[1,0] op_sel_hi:[0,1] neg_lo:[0,1] neg_hi:[0,1]
	ds_write_b128 v79, v[0:3] offset:48
	v_pk_add_f32 v[0:1], v[28:29], v[26:27] op_sel:[0,1] op_sel_hi:[1,0] neg_lo:[0,1] neg_hi:[0,1]
	v_mov_b32_e32 v2, v5
	v_mov_b32_e32 v3, v4
	ds_write_b128 v79, v[0:3] offset:64
	v_mul_lo_u16_sdwa v0, v180, s4 dst_sel:DWORD dst_unused:UNUSED_PAD src0_sel:BYTE_0 src1_sel:DWORD
	v_lshrrev_b16_e32 v2, 11, v0
	v_mul_lo_u16_e32 v0, 10, v2
	v_sub_u16_e32 v0, v180, v0
	v_and_b32_e32 v3, 0xff, v0
	v_mad_u64_u32 v[0:1], s[2:3], v3, 40, s[6:7]
	s_waitcnt lgkmcnt(0)
	s_barrier
	global_load_dwordx2 v[144:145], v[0:1], off offset:32
	global_load_dwordx4 v[186:189], v[0:1], off offset:16
	global_load_dwordx4 v[182:185], v[0:1], off
	v_mul_lo_u16_sdwa v0, v76, s4 dst_sel:DWORD dst_unused:UNUSED_PAD src0_sel:BYTE_0 src1_sel:DWORD
	v_lshrrev_b16_e32 v4, 11, v0
	v_mul_lo_u16_e32 v0, 10, v4
	v_sub_u16_e32 v0, v76, v0
	v_and_b32_e32 v5, 0xff, v0
	v_mad_u64_u32 v[0:1], s[2:3], v5, 40, s[6:7]
	s_mov_b32 s2, 0xcccd
	global_load_dwordx2 v[134:135], v[0:1], off offset:32
	global_load_dwordx4 v[16:19], v[0:1], off offset:16
	global_load_dwordx4 v[20:23], v[0:1], off
	v_mul_u32_u24_sdwa v0, v78, s2 dst_sel:DWORD dst_unused:UNUSED_PAD src0_sel:WORD_0 src1_sel:DWORD
	v_lshrrev_b32_e32 v6, 19, v0
	v_mul_lo_u16_e32 v0, 10, v6
	v_sub_u16_e32 v7, v78, v0
	v_mul_lo_u16_e32 v0, 40, v7
	v_mov_b32_e32 v1, v241
	v_lshl_add_u64 v[0:1], s[6:7], 0, v[0:1]
	global_load_dwordx2 v[122:123], v[0:1], off offset:32
	global_load_dwordx4 v[24:27], v[0:1], off offset:16
	global_load_dwordx4 v[28:31], v[0:1], off
	v_mul_u32_u24_sdwa v0, v116, s2 dst_sel:DWORD dst_unused:UNUSED_PAD src0_sel:WORD_0 src1_sel:DWORD
	v_lshrrev_b32_e32 v8, 19, v0
	v_mul_lo_u16_e32 v0, 10, v8
	v_sub_u16_e32 v9, v116, v0
	v_mul_lo_u16_e32 v0, 40, v9
	v_mov_b32_e32 v1, v241
	v_lshl_add_u64 v[0:1], s[6:7], 0, v[0:1]
	global_load_dwordx2 v[72:73], v[0:1], off offset:32
	global_load_dwordx4 v[48:51], v[0:1], off offset:16
	global_load_dwordx4 v[52:55], v[0:1], off
	v_mul_u32_u24_e32 v0, 0xcccd, v77
	v_lshrrev_b32_e32 v10, 19, v0
	v_mul_lo_u16_e32 v0, 10, v10
	v_sub_u16_e32 v11, v77, v0
	v_mul_lo_u16_e32 v0, 40, v11
	v_mov_b32_e32 v1, v241
	v_lshl_add_u64 v[0:1], s[6:7], 0, v[0:1]
	global_load_dwordx2 v[12:13], v[0:1], off offset:32
	global_load_dwordx4 v[64:67], v[0:1], off offset:16
	global_load_dwordx4 v[68:71], v[0:1], off
	v_mul_u32_u24_e32 v0, 60, v2
	v_add_lshl_u32 v149, v0, v3, 3
	v_mul_u32_u24_e32 v0, 60, v4
	v_add_lshl_u32 v148, v0, v5, 3
	v_mad_legacy_u16 v0, v6, 60, v7
	v_lshlrev_b32_e32 v147, 3, v0
	v_mad_legacy_u16 v0, v8, 60, v9
	v_lshlrev_b32_e32 v146, 3, v0
	v_mad_legacy_u16 v0, v10, 60, v11
	v_accvgpr_write_b32 a73, v79
	v_lshlrev_b32_e32 v79, 3, v0
	ds_read2_b64 v[8:11], v242 offset0:128 offset1:224
	ds_read2_b64 v[0:3], v201 offset1:96
	ds_read2_b64 v[36:39], v254 offset0:64 offset1:160
	ds_read2_b64 v[60:63], v203 offset0:64 offset1:160
	ds_read2_b64 v[32:35], v247 offset1:96
	ds_read2_b64 v[44:47], v245 offset0:128 offset1:224
	s_mov_b32 s2, 0x3f5db3d7
	v_accvgpr_write_b32 a79, v99
	v_accvgpr_write_b32 a72, v98
	s_movk_i32 s5, 0x89
	v_accvgpr_write_b32 a74, v79
	v_accvgpr_write_b32 a81, v147
	;; [unrolled: 1-line block ×5, first 2 shown]
	s_mov_b32 s4, 0.5
	s_waitcnt vmcnt(14)
	v_accvgpr_write_b32 a92, v144
	v_accvgpr_write_b32 a93, v145
	s_waitcnt vmcnt(13)
	v_accvgpr_write_b32 a108, v189
	s_waitcnt vmcnt(12)
	;; [unrolled: 2-line block ×5, first 2 shown]
	v_accvgpr_write_b32 a84, v122
	v_accvgpr_write_b32 a85, v123
	s_waitcnt vmcnt(6)
	v_accvgpr_write_b32 a116, v31
	v_accvgpr_write_b32 a126, v27
	s_waitcnt vmcnt(5)
	;; [unrolled: 3-line block ×4, first 2 shown]
	v_accvgpr_write_b32 a95, v13
	v_accvgpr_write_b32 a94, v12
	s_waitcnt vmcnt(0) lgkmcnt(4)
	v_pk_mul_f32 v[4:5], v[2:3], v[68:69] op_sel_hi:[1,0]
	v_mov_b32_e32 v6, v69
	v_pk_fma_f32 v[80:81], v[2:3], v[6:7], v[4:5] op_sel:[0,0,1] op_sel_hi:[1,1,0]
	v_pk_fma_f32 v[2:3], v[2:3], v[68:69], v[4:5] op_sel:[0,1,1] op_sel_hi:[1,1,0] neg_lo:[1,0,0] neg_hi:[1,0,0]
	v_mov_b32_e32 v4, v71
	v_mov_b32_e32 v81, v3
	s_waitcnt lgkmcnt(3)
	v_pk_mul_f32 v[2:3], v[36:37], v[4:5] op_sel_hi:[1,0]
	v_mov_b32_e32 v4, v65
	v_pk_fma_f32 v[82:83], v[36:37], v[70:71], v[2:3] op_sel:[0,0,1] op_sel_hi:[1,1,0] neg_lo:[0,0,1] neg_hi:[0,0,1]
	v_pk_fma_f32 v[2:3], v[36:37], v[70:71], v[2:3] op_sel:[0,0,1] op_sel_hi:[1,0,0]
	s_nop 0
	v_mov_b32_e32 v83, v3
	s_waitcnt lgkmcnt(2)
	v_pk_mul_f32 v[2:3], v[62:63], v[64:65] op_sel_hi:[1,0]
	s_nop 0
	v_pk_fma_f32 v[36:37], v[62:63], v[4:5], v[2:3] op_sel:[0,0,1] op_sel_hi:[1,1,0]
	v_pk_fma_f32 v[2:3], v[62:63], v[64:65], v[2:3] op_sel:[0,1,1] op_sel_hi:[1,1,0] neg_lo:[1,0,0] neg_hi:[1,0,0]
	v_mov_b32_e32 v4, v67
	v_mov_b32_e32 v37, v3
	s_waitcnt lgkmcnt(1)
	v_pk_mul_f32 v[2:3], v[32:33], v[4:5] op_sel_hi:[1,0]
	v_mov_b32_e32 v4, v13
	v_pk_fma_f32 v[62:63], v[32:33], v[66:67], v[2:3] op_sel:[0,0,1] op_sel_hi:[1,1,0] neg_lo:[0,0,1] neg_hi:[0,0,1]
	v_pk_fma_f32 v[2:3], v[32:33], v[66:67], v[2:3] op_sel:[0,0,1] op_sel_hi:[1,0,0]
	s_nop 0
	v_mov_b32_e32 v63, v3
	s_waitcnt lgkmcnt(0)
	v_pk_mul_f32 v[2:3], v[46:47], v[12:13] op_sel_hi:[1,0]
	s_nop 0
	v_pk_fma_f32 v[32:33], v[46:47], v[4:5], v[2:3] op_sel:[0,0,1] op_sel_hi:[1,1,0]
	v_pk_fma_f32 v[2:3], v[46:47], v[12:13], v[2:3] op_sel:[0,1,1] op_sel_hi:[1,1,0] neg_lo:[1,0,0] neg_hi:[1,0,0]
	v_pk_add_f32 v[4:5], v[82:83], v[62:63] neg_lo:[0,1] neg_hi:[0,1]
	v_mov_b32_e32 v33, v3
	v_pk_add_f32 v[2:3], v[82:83], v[62:63]
	v_pk_mul_f32 v[4:5], v[4:5], s[2:3] op_sel_hi:[1,0]
	v_pk_fma_f32 v[2:3], v[2:3], 0.5, v[8:9] op_sel_hi:[1,0,1] neg_lo:[1,0,0] neg_hi:[1,0,0]
	v_pk_add_f32 v[12:13], v[36:37], v[32:33] neg_lo:[0,1] neg_hi:[0,1]
	v_pk_add_f32 v[6:7], v[4:5], v[2:3] op_sel:[1,0] op_sel_hi:[0,1]
	v_pk_add_f32 v[2:3], v[2:3], v[4:5] op_sel:[0,1] op_sel_hi:[1,0] neg_lo:[0,1] neg_hi:[0,1]
	v_pk_add_f32 v[4:5], v[36:37], v[32:33]
	v_pk_mul_f32 v[12:13], v[12:13], s[2:3] op_sel_hi:[1,0]
	v_pk_fma_f32 v[4:5], v[4:5], 0.5, v[80:81] op_sel_hi:[1,0,1] neg_lo:[1,0,0] neg_hi:[1,0,0]
	v_mov_b32_e32 v90, v2
	v_pk_add_f32 v[14:15], v[12:13], v[4:5] op_sel:[1,0] op_sel_hi:[0,1]
	v_pk_add_f32 v[4:5], v[4:5], v[12:13] op_sel:[0,1] op_sel_hi:[1,0] neg_lo:[0,1] neg_hi:[0,1]
	v_mov_b32_e32 v12, v14
	v_mov_b32_e32 v13, v5
	v_mul_f32_e32 v2, 0x3f5db3d7, v4
	s_mov_b32 s3, 0xbf5db3d7
	v_pk_mul_f32 v[40:41], v[12:13], 0.5 op_sel_hi:[1,0]
	v_fmac_f32_e32 v2, 0.5, v15
	v_pk_fma_f32 v[92:93], v[12:13], s[2:3], v[40:41] op_sel:[0,0,1] op_sel_hi:[1,1,0] neg_lo:[0,0,1] neg_hi:[0,0,1]
	v_mul_f32_e32 v5, 0xbf5db3d7, v15
	ds_read2_b64 v[12:15], v243 offset0:64 offset1:160
	ds_read2_b64 v[56:59], v202 offset0:128 offset1:224
	;; [unrolled: 1-line block ×3, first 2 shown]
	v_fmac_f32_e32 v5, 0.5, v4
	v_add_f32_e32 v88, v6, v2
	v_add_f32_e32 v89, v3, v5
	v_sub_f32_e32 v84, v6, v2
	v_sub_f32_e32 v85, v3, v5
	v_pk_mul_f32 v[2:3], v[0:1], v[52:53] op_sel_hi:[1,0]
	v_mov_b32_e32 v4, v53
	v_pk_fma_f32 v[94:95], v[0:1], v[4:5], v[2:3] op_sel:[0,0,1] op_sel_hi:[1,1,0]
	v_pk_fma_f32 v[0:1], v[0:1], v[52:53], v[2:3] op_sel:[0,1,1] op_sel_hi:[1,1,0] neg_lo:[1,0,0] neg_hi:[1,0,0]
	v_mov_b32_e32 v2, v55
	v_mov_b32_e32 v95, v1
	s_waitcnt lgkmcnt(1)
	v_pk_mul_f32 v[0:1], v[58:59], v[2:3] op_sel_hi:[1,0]
	v_mov_b32_e32 v2, v49
	v_pk_fma_f32 v[96:97], v[58:59], v[54:55], v[0:1] op_sel:[0,0,1] op_sel_hi:[1,1,0] neg_lo:[0,0,1] neg_hi:[0,0,1]
	v_pk_fma_f32 v[0:1], v[58:59], v[54:55], v[0:1] op_sel:[0,0,1] op_sel_hi:[1,0,0]
	v_mov_b32_e32 v91, v7
	v_mov_b32_e32 v97, v1
	v_pk_mul_f32 v[0:1], v[60:61], v[48:49] op_sel_hi:[1,0]
	v_pk_add_f32 v[86:87], v[90:91], v[92:93] neg_lo:[0,1] neg_hi:[0,1]
	v_pk_fma_f32 v[98:99], v[60:61], v[2:3], v[0:1] op_sel:[0,0,1] op_sel_hi:[1,1,0]
	v_pk_fma_f32 v[0:1], v[60:61], v[48:49], v[0:1] op_sel:[0,1,1] op_sel_hi:[1,1,0] neg_lo:[1,0,0] neg_hi:[1,0,0]
	v_mov_b32_e32 v2, v51
	v_mov_b32_e32 v99, v1
	s_waitcnt lgkmcnt(0)
	v_pk_mul_f32 v[0:1], v[42:43], v[2:3] op_sel_hi:[1,0]
	v_mov_b32_e32 v2, v73
	v_pk_fma_f32 v[100:101], v[42:43], v[50:51], v[0:1] op_sel:[0,0,1] op_sel_hi:[1,1,0] neg_lo:[0,0,1] neg_hi:[0,0,1]
	v_pk_fma_f32 v[0:1], v[42:43], v[50:51], v[0:1] op_sel:[0,0,1] op_sel_hi:[1,0,0]
	s_nop 0
	v_mov_b32_e32 v101, v1
	v_pk_mul_f32 v[0:1], v[44:45], v[72:73] op_sel_hi:[1,0]
	s_nop 0
	v_pk_fma_f32 v[104:105], v[44:45], v[2:3], v[0:1] op_sel:[0,0,1] op_sel_hi:[1,1,0]
	v_pk_fma_f32 v[0:1], v[44:45], v[72:73], v[0:1] op_sel:[0,1,1] op_sel_hi:[1,1,0] neg_lo:[1,0,0] neg_hi:[1,0,0]
	v_pk_add_f32 v[2:3], v[96:97], v[100:101] neg_lo:[0,1] neg_hi:[0,1]
	v_mov_b32_e32 v105, v1
	v_pk_add_f32 v[0:1], v[96:97], v[100:101]
	v_pk_mul_f32 v[2:3], v[2:3], s[2:3] op_sel_hi:[1,0]
	v_pk_fma_f32 v[0:1], v[0:1], 0.5, v[14:15] op_sel_hi:[1,0,1] neg_lo:[1,0,0] neg_hi:[1,0,0]
	v_pk_add_f32 v[6:7], v[98:99], v[104:105] neg_lo:[0,1] neg_hi:[0,1]
	v_pk_add_f32 v[4:5], v[2:3], v[0:1] op_sel:[1,0] op_sel_hi:[0,1]
	v_pk_add_f32 v[0:1], v[0:1], v[2:3] op_sel:[0,1] op_sel_hi:[1,0] neg_lo:[0,1] neg_hi:[0,1]
	v_pk_add_f32 v[2:3], v[98:99], v[104:105]
	v_pk_mul_f32 v[6:7], v[6:7], s[2:3] op_sel_hi:[1,0]
	v_pk_fma_f32 v[2:3], v[2:3], 0.5, v[94:95] op_sel_hi:[1,0,1] neg_lo:[1,0,0] neg_hi:[1,0,0]
	v_mov_b32_e32 v110, v0
	v_pk_add_f32 v[42:43], v[6:7], v[2:3] op_sel:[1,0] op_sel_hi:[0,1]
	v_pk_add_f32 v[2:3], v[2:3], v[6:7] op_sel:[0,1] op_sel_hi:[1,0] neg_lo:[0,1] neg_hi:[0,1]
	v_mov_b32_e32 v6, v42
	v_mov_b32_e32 v7, v3
	v_pk_mul_f32 v[44:45], v[6:7], 0.5 op_sel_hi:[1,0]
	v_mul_f32_e32 v0, 0x3f5db3d7, v2
	v_pk_fma_f32 v[112:113], v[6:7], s[2:3], v[44:45] op_sel:[0,0,1] op_sel_hi:[1,1,0] neg_lo:[0,0,1] neg_hi:[0,0,1]
	ds_read2_b64 v[72:75], v255 offset0:64 offset1:160
	ds_read2_b64 v[58:61], v191 offset1:96
	ds_read2_b64 v[44:47], v246 offset0:64 offset1:160
	v_mul_f32_e32 v3, 0xbf5db3d7, v43
	v_fmac_f32_e32 v0, 0.5, v43
	v_fmac_f32_e32 v3, 0.5, v2
	v_add_f32_e32 v108, v4, v0
	v_add_f32_e32 v109, v1, v3
	v_sub_f32_e32 v102, v4, v0
	v_sub_f32_e32 v103, v1, v3
	s_waitcnt lgkmcnt(2)
	v_pk_mul_f32 v[0:1], v[74:75], v[28:29] op_sel_hi:[1,0]
	v_mov_b32_e32 v2, v29
	v_pk_fma_f32 v[120:121], v[74:75], v[2:3], v[0:1] op_sel:[0,0,1] op_sel_hi:[1,1,0]
	v_pk_fma_f32 v[0:1], v[74:75], v[28:29], v[0:1] op_sel:[0,1,1] op_sel_hi:[1,1,0] neg_lo:[1,0,0] neg_hi:[1,0,0]
	v_mov_b32_e32 v2, v31
	v_mov_b32_e32 v121, v1
	v_pk_mul_f32 v[0:1], v[56:57], v[2:3] op_sel_hi:[1,0]
	v_mov_b32_e32 v2, v25
	v_pk_fma_f32 v[74:75], v[56:57], v[30:31], v[0:1] op_sel:[0,0,1] op_sel_hi:[1,1,0] neg_lo:[0,0,1] neg_hi:[0,0,1]
	v_pk_fma_f32 v[0:1], v[56:57], v[30:31], v[0:1] op_sel:[0,0,1] op_sel_hi:[1,0,0]
	v_mov_b32_e32 v111, v5
	v_mov_b32_e32 v75, v1
	s_waitcnt lgkmcnt(1)
	v_pk_mul_f32 v[0:1], v[60:61], v[24:25] op_sel_hi:[1,0]
	v_pk_add_f32 v[106:107], v[110:111], v[112:113] neg_lo:[0,1] neg_hi:[0,1]
	v_pk_fma_f32 v[56:57], v[60:61], v[2:3], v[0:1] op_sel:[0,0,1] op_sel_hi:[1,1,0]
	v_pk_fma_f32 v[0:1], v[60:61], v[24:25], v[0:1] op_sel:[0,1,1] op_sel_hi:[1,1,0] neg_lo:[1,0,0] neg_hi:[1,0,0]
	v_mov_b32_e32 v2, v27
	v_mov_b32_e32 v57, v1
	v_pk_mul_f32 v[0:1], v[40:41], v[2:3] op_sel_hi:[1,0]
	v_mov_b32_e32 v2, v123
	v_pk_fma_f32 v[124:125], v[40:41], v[26:27], v[0:1] op_sel:[0,0,1] op_sel_hi:[1,1,0] neg_lo:[0,0,1] neg_hi:[0,0,1]
	v_pk_fma_f32 v[0:1], v[40:41], v[26:27], v[0:1] op_sel:[0,0,1] op_sel_hi:[1,0,0]
	s_nop 0
	v_mov_b32_e32 v125, v1
	s_waitcnt lgkmcnt(0)
	v_pk_mul_f32 v[0:1], v[46:47], v[122:123] op_sel_hi:[1,0]
	s_nop 0
	v_pk_fma_f32 v[60:61], v[46:47], v[2:3], v[0:1] op_sel:[0,0,1] op_sel_hi:[1,1,0]
	v_pk_fma_f32 v[0:1], v[46:47], v[122:123], v[0:1] op_sel:[0,1,1] op_sel_hi:[1,1,0] neg_lo:[1,0,0] neg_hi:[1,0,0]
	v_pk_add_f32 v[2:3], v[74:75], v[124:125] neg_lo:[0,1] neg_hi:[0,1]
	v_mov_b32_e32 v61, v1
	v_pk_add_f32 v[0:1], v[74:75], v[124:125]
	v_pk_mul_f32 v[2:3], v[2:3], s[2:3] op_sel_hi:[1,0]
	v_pk_fma_f32 v[0:1], v[0:1], 0.5, v[12:13] op_sel_hi:[1,0,1] neg_lo:[1,0,0] neg_hi:[1,0,0]
	v_pk_add_f32 v[6:7], v[56:57], v[60:61] neg_lo:[0,1] neg_hi:[0,1]
	v_pk_add_f32 v[4:5], v[2:3], v[0:1] op_sel:[1,0] op_sel_hi:[0,1]
	v_pk_add_f32 v[0:1], v[0:1], v[2:3] op_sel:[0,1] op_sel_hi:[1,0] neg_lo:[0,1] neg_hi:[0,1]
	v_pk_add_f32 v[2:3], v[56:57], v[60:61]
	v_pk_mul_f32 v[6:7], v[6:7], s[2:3] op_sel_hi:[1,0]
	v_pk_fma_f32 v[2:3], v[2:3], 0.5, v[120:121] op_sel_hi:[1,0,1] neg_lo:[1,0,0] neg_hi:[1,0,0]
	v_mov_b32_e32 v128, v0
	v_pk_add_f32 v[40:41], v[6:7], v[2:3] op_sel:[1,0] op_sel_hi:[0,1]
	v_pk_add_f32 v[2:3], v[2:3], v[6:7] op_sel:[0,1] op_sel_hi:[1,0] neg_lo:[0,1] neg_hi:[0,1]
	v_mov_b32_e32 v6, v40
	v_mov_b32_e32 v7, v3
	v_mul_f32_e32 v0, 0x3f5db3d7, v2
	v_pk_mul_f32 v[42:43], v[6:7], 0.5 op_sel_hi:[1,0]
	v_fmac_f32_e32 v0, 0.5, v41
	v_pk_fma_f32 v[130:131], v[6:7], s[2:3], v[42:43] op_sel:[0,0,1] op_sel_hi:[1,1,0] neg_lo:[0,0,1] neg_hi:[0,0,1]
	v_mul_f32_e32 v3, 0xbf5db3d7, v41
	ds_read2_b64 v[40:43], v240 offset1:96
	ds_read2_b64 v[136:139], v196 offset0:64 offset1:160
	ds_read2_b64 v[140:143], v244 offset0:128 offset1:224
	v_fmac_f32_e32 v3, 0.5, v2
	v_add_f32_e32 v126, v4, v0
	v_add_f32_e32 v127, v1, v3
	v_sub_f32_e32 v46, v4, v0
	v_sub_f32_e32 v47, v1, v3
	v_pk_mul_f32 v[0:1], v[72:73], v[20:21] op_sel:[0,1]
	v_mov_b32_e32 v129, v5
	v_pk_fma_f32 v[4:5], v[72:73], v[20:21], v[0:1] op_sel:[0,0,1] op_sel_hi:[1,1,0] neg_lo:[0,0,1] neg_hi:[0,0,1]
	v_pk_fma_f32 v[0:1], v[72:73], v[20:21], v[0:1] op_sel:[0,0,1] op_sel_hi:[1,0,0]
	v_mov_b32_e32 v2, v23
	v_mov_b32_e32 v5, v1
	s_waitcnt lgkmcnt(1)
	v_pk_mul_f32 v[0:1], v[138:139], v[2:3] op_sel_hi:[1,0]
	v_mov_b32_e32 v2, v19
	v_pk_fma_f32 v[72:73], v[138:139], v[22:23], v[0:1] op_sel:[0,0,1] op_sel_hi:[1,1,0] neg_lo:[0,0,1] neg_hi:[0,0,1]
	v_pk_fma_f32 v[0:1], v[138:139], v[22:23], v[0:1] op_sel:[0,0,1] op_sel_hi:[1,0,0]
	s_waitcnt lgkmcnt(0)
	v_mov_b32_e32 v73, v1
	v_pk_mul_f32 v[0:1], v[58:59], v[16:17] op_sel:[0,1]
	s_barrier
	v_pk_fma_f32 v[132:133], v[58:59], v[16:17], v[0:1] op_sel:[0,0,1] op_sel_hi:[1,1,0] neg_lo:[0,0,1] neg_hi:[0,0,1]
	v_pk_fma_f32 v[0:1], v[58:59], v[16:17], v[0:1] op_sel:[0,0,1] op_sel_hi:[1,0,0]
	s_nop 0
	v_mov_b32_e32 v133, v1
	v_pk_mul_f32 v[0:1], v[142:143], v[2:3] op_sel_hi:[1,0]
	v_mov_b64_e32 v[2:3], v[134:135]
	v_pk_fma_f32 v[58:59], v[142:143], v[18:19], v[0:1] op_sel:[0,0,1] op_sel_hi:[1,1,0] neg_lo:[0,0,1] neg_hi:[0,0,1]
	v_pk_fma_f32 v[0:1], v[142:143], v[18:19], v[0:1] op_sel:[0,0,1] op_sel_hi:[1,0,0]
	v_accvgpr_write_b32 a87, v3
	v_mov_b32_e32 v59, v1
	v_pk_mul_f32 v[0:1], v[44:45], v[2:3] op_sel:[0,1]
	v_accvgpr_write_b32 a86, v2
	v_pk_fma_f32 v[134:135], v[44:45], v[2:3], v[0:1] op_sel:[0,0,1] op_sel_hi:[1,1,0] neg_lo:[0,0,1] neg_hi:[0,0,1]
	v_pk_fma_f32 v[0:1], v[44:45], v[2:3], v[0:1] op_sel:[0,0,1] op_sel_hi:[1,0,0]
	v_pk_mul_f32 v[44:45], v[10:11], v[182:183] op_sel:[0,1]
	v_mov_b32_e32 v135, v1
	v_pk_fma_f32 v[138:139], v[10:11], v[182:183], v[44:45] op_sel:[0,0,1] op_sel_hi:[1,1,0] neg_lo:[0,0,1] neg_hi:[0,0,1]
	v_pk_fma_f32 v[10:11], v[10:11], v[182:183], v[44:45] op_sel:[0,0,1] op_sel_hi:[1,0,0]
	v_mov_b32_e32 v44, v185
	v_mov_b32_e32 v139, v11
	v_pk_mul_f32 v[10:11], v[136:137], v[44:45] op_sel_hi:[1,0]
	v_pk_add_f32 v[2:3], v[4:5], v[132:133]
	v_pk_fma_f32 v[44:45], v[136:137], v[184:185], v[10:11] op_sel:[0,0,1] op_sel_hi:[1,1,0] neg_lo:[0,0,1] neg_hi:[0,0,1]
	v_pk_fma_f32 v[10:11], v[136:137], v[184:185], v[10:11] op_sel:[0,0,1] op_sel_hi:[1,0,0]
	v_pk_add_f32 v[0:1], v[42:43], v[72:73]
	v_mov_b32_e32 v45, v11
	v_pk_mul_f32 v[10:11], v[38:39], v[186:187] op_sel:[0,1]
	v_pk_add_f32 v[0:1], v[0:1], v[58:59]
	v_pk_fma_f32 v[136:137], v[38:39], v[186:187], v[10:11] op_sel:[0,0,1] op_sel_hi:[1,1,0] neg_lo:[0,0,1] neg_hi:[0,0,1]
	v_pk_fma_f32 v[10:11], v[38:39], v[186:187], v[10:11] op_sel:[0,0,1] op_sel_hi:[1,0,0]
	v_mov_b32_e32 v38, v189
	v_mov_b32_e32 v137, v11
	v_pk_mul_f32 v[10:11], v[140:141], v[38:39] op_sel_hi:[1,0]
	v_pk_add_f32 v[2:3], v[2:3], v[134:135]
	v_pk_fma_f32 v[38:39], v[140:141], v[188:189], v[10:11] op_sel:[0,0,1] op_sel_hi:[1,1,0] neg_lo:[0,0,1] neg_hi:[0,0,1]
	v_pk_fma_f32 v[10:11], v[140:141], v[188:189], v[10:11] op_sel:[0,0,1] op_sel_hi:[1,0,0]
	v_pk_add_f32 v[6:7], v[0:1], v[2:3]
	v_mov_b32_e32 v39, v11
	v_pk_mul_f32 v[10:11], v[34:35], v[144:145] op_sel:[0,1]
	v_pk_add_f32 v[0:1], v[0:1], v[2:3] neg_lo:[0,1] neg_hi:[0,1]
	v_pk_fma_f32 v[140:141], v[34:35], v[144:145], v[10:11] op_sel:[0,0,1] op_sel_hi:[1,1,0] neg_lo:[0,0,1] neg_hi:[0,0,1]
	v_pk_fma_f32 v[10:11], v[34:35], v[144:145], v[10:11] op_sel:[0,0,1] op_sel_hi:[1,0,0]
	v_pk_add_f32 v[144:145], v[44:45], v[38:39]
	v_mov_b32_e32 v141, v11
	v_pk_add_f32 v[10:11], v[40:41], v[44:45]
	v_pk_fma_f32 v[40:41], v[144:145], 0.5, v[40:41] op_sel_hi:[1,0,1] neg_lo:[1,0,0] neg_hi:[1,0,0]
	v_pk_add_f32 v[144:145], v[136:137], v[140:141]
	v_pk_add_f32 v[34:35], v[138:139], v[136:137]
	v_pk_fma_f32 v[138:139], v[144:145], 0.5, v[138:139] op_sel_hi:[1,0,1] neg_lo:[1,0,0] neg_hi:[1,0,0]
	v_pk_add_f32 v[136:137], v[136:137], v[140:141] neg_lo:[0,1] neg_hi:[0,1]
	v_pk_add_f32 v[10:11], v[10:11], v[38:39]
	v_pk_add_f32 v[34:35], v[34:35], v[140:141]
	v_pk_add_f32 v[38:39], v[44:45], v[38:39] neg_lo:[0,1] neg_hi:[0,1]
	v_pk_fma_f32 v[140:141], v[136:137], s[2:3], v[138:139] op_sel:[0,0,1] op_sel_hi:[1,0,0]
	v_pk_fma_f32 v[136:137], v[136:137], s[2:3], v[138:139] op_sel:[0,0,1] op_sel_hi:[1,0,0] neg_lo:[1,0,0] neg_hi:[1,0,0]
	v_pk_mul_f32 v[38:39], v[38:39], s[2:3] op_sel_hi:[1,0]
	v_mov_b32_e32 v138, v140
	v_mov_b32_e32 v139, v137
	v_mul_f32_e32 v23, 0xbf5db3d7, v141
	v_pk_add_f32 v[44:45], v[38:39], v[40:41] op_sel:[1,0] op_sel_hi:[0,1]
	v_pk_add_f32 v[38:39], v[40:41], v[38:39] op_sel:[0,1] op_sel_hi:[1,0] neg_lo:[0,1] neg_hi:[0,1]
	v_mul_f32_e32 v19, 0x3f5db3d7, v136
	v_fmac_f32_e32 v23, 0.5, v136
	v_pk_mul_f32 v[136:137], v[138:139], 0.5 op_sel_hi:[1,0]
	v_mov_b32_e32 v40, v38
	v_mov_b32_e32 v41, v45
	v_pk_fma_f32 v[136:137], v[138:139], s[2:3], v[136:137] op_sel:[0,0,1] op_sel_hi:[1,1,0] neg_lo:[0,0,1] neg_hi:[0,0,1]
	v_pk_add_f32 v[142:143], v[10:11], v[34:35]
	v_fmac_f32_e32 v19, 0.5, v141
	v_pk_add_f32 v[138:139], v[40:41], v[136:137]
	v_pk_add_f32 v[10:11], v[10:11], v[34:35] neg_lo:[0,1] neg_hi:[0,1]
	v_add_f32_e32 v141, v39, v23
	v_sub_f32_e32 v38, v44, v19
	v_sub_f32_e32 v39, v39, v23
	ds_write2_b64 v149, v[138:139], v[10:11] offset0:20 offset1:30
	v_pk_add_f32 v[10:11], v[40:41], v[136:137] neg_lo:[0,1] neg_hi:[0,1]
	v_pk_add_f32 v[40:41], v[132:133], v[134:135]
	ds_write2_b64 v149, v[38:39], v[10:11] offset0:40 offset1:50
	v_pk_add_f32 v[10:11], v[72:73], v[58:59]
	v_pk_add_f32 v[34:35], v[72:73], v[58:59] neg_lo:[0,1] neg_hi:[0,1]
	v_pk_fma_f32 v[4:5], v[40:41], 0.5, v[4:5] op_sel_hi:[1,0,1] neg_lo:[1,0,0] neg_hi:[1,0,0]
	v_pk_add_f32 v[40:41], v[132:133], v[134:135] neg_lo:[0,1] neg_hi:[0,1]
	v_pk_fma_f32 v[10:11], v[10:11], 0.5, v[42:43] op_sel_hi:[1,0,1] neg_lo:[1,0,0] neg_hi:[1,0,0]
	v_pk_mul_f32 v[34:35], v[34:35], s[2:3] op_sel_hi:[1,0]
	v_pk_fma_f32 v[42:43], v[40:41], s[2:3], v[4:5] op_sel:[0,0,1] op_sel_hi:[1,0,0]
	v_pk_fma_f32 v[4:5], v[40:41], s[2:3], v[4:5] op_sel:[0,0,1] op_sel_hi:[1,0,0] neg_lo:[1,0,0] neg_hi:[1,0,0]
	v_add_f32_e32 v140, v44, v19
	v_pk_add_f32 v[38:39], v[34:35], v[10:11] op_sel:[1,0] op_sel_hi:[0,1]
	v_pk_add_f32 v[10:11], v[10:11], v[34:35] op_sel:[0,1] op_sel_hi:[1,0] neg_lo:[0,1] neg_hi:[0,1]
	v_mov_b32_e32 v40, v42
	v_mov_b32_e32 v41, v5
	v_mul_f32_e32 v19, 0xbf5db3d7, v43
	v_mov_b32_e32 v34, v10
	v_mul_f32_e32 v10, 0x3f5db3d7, v4
	v_fmac_f32_e32 v19, 0.5, v4
	v_pk_mul_f32 v[4:5], v[40:41], 0.5 op_sel_hi:[1,0]
	v_mov_b32_e32 v35, v39
	v_pk_fma_f32 v[4:5], v[40:41], s[2:3], v[4:5] op_sel:[0,0,1] op_sel_hi:[1,1,0] neg_lo:[0,0,1] neg_hi:[0,0,1]
	ds_write2_b64 v149, v[142:143], v[140:141] offset1:10
	v_pk_add_f32 v[40:41], v[34:35], v[4:5]
	v_fmac_f32_e32 v10, 0.5, v43
	ds_write2_b64 v148, v[40:41], v[0:1] offset0:20 offset1:30
	v_pk_add_f32 v[0:1], v[34:35], v[4:5] neg_lo:[0,1] neg_hi:[0,1]
	v_pk_add_f32 v[2:3], v[12:13], v[74:75]
	v_pk_add_f32 v[4:5], v[120:121], v[56:57]
	v_add_f32_e32 v42, v38, v10
	v_add_f32_e32 v43, v11, v19
	v_pk_add_f32 v[2:3], v[2:3], v[124:125]
	v_pk_add_f32 v[4:5], v[4:5], v[60:61]
	v_sub_f32_e32 v10, v38, v10
	v_sub_f32_e32 v11, v11, v19
	ds_write2_b64 v148, v[6:7], v[42:43] offset1:10
	v_pk_add_f32 v[6:7], v[2:3], v[4:5] op_sel:[0,1] op_sel_hi:[1,0] neg_lo:[0,1] neg_hi:[0,1]
	v_pk_add_f32 v[2:3], v[2:3], v[4:5] op_sel:[0,1] op_sel_hi:[1,0]
	v_pk_add_f32 v[122:123], v[128:129], v[130:131] neg_lo:[0,1] neg_hi:[0,1]
	ds_write2_b64 v148, v[10:11], v[0:1] offset0:40 offset1:50
	v_pk_add_f32 v[0:1], v[128:129], v[130:131]
	ds_write2_b64 v147, v[2:3], v[126:127] offset1:10
	ds_write2_b64 v147, v[0:1], v[6:7] offset0:20 offset1:30
	ds_write2_b64 v147, v[46:47], v[122:123] offset0:40 offset1:50
	v_pk_add_f32 v[2:3], v[14:15], v[96:97]
	v_pk_add_f32 v[4:5], v[94:95], v[98:99]
	;; [unrolled: 1-line block ×5, first 2 shown]
	v_pk_add_f32 v[6:7], v[2:3], v[4:5] op_sel:[0,1] op_sel_hi:[1,0] neg_lo:[0,1] neg_hi:[0,1]
	v_pk_add_f32 v[2:3], v[2:3], v[4:5] op_sel:[0,1] op_sel_hi:[1,0]
	ds_write2_b64 v146, v[2:3], v[108:109] offset1:10
	ds_write2_b64 v146, v[0:1], v[6:7] offset0:20 offset1:30
	ds_write2_b64 v146, v[102:103], v[106:107] offset0:40 offset1:50
	v_pk_add_f32 v[2:3], v[8:9], v[82:83]
	v_pk_add_f32 v[4:5], v[80:81], v[36:37]
	;; [unrolled: 1-line block ×5, first 2 shown]
	v_pk_add_f32 v[6:7], v[2:3], v[4:5] op_sel:[0,1] op_sel_hi:[1,0] neg_lo:[0,1] neg_hi:[0,1]
	v_pk_add_f32 v[2:3], v[2:3], v[4:5] op_sel:[0,1] op_sel_hi:[1,0]
	ds_write2_b64 v79, v[2:3], v[88:89] offset1:10
	ds_write2_b64 v79, v[0:1], v[6:7] offset0:20 offset1:30
	ds_write2_b64 v79, v[84:85], v[86:87] offset0:40 offset1:50
	v_subrev_u32_e32 v0, 60, v180
	v_cndmask_b32_e32 v2, v0, v180, vcc
	v_mul_hi_i32_i24_e32 v1, 40, v2
	v_mul_i32_i24_e32 v0, 40, v2
	v_lshl_add_u64 v[0:1], s[6:7], 0, v[0:1]
	s_waitcnt lgkmcnt(0)
	s_barrier
	global_load_dwordx2 v[192:193], v[0:1], off offset:432
	global_load_dwordx4 v[248:251], v[0:1], off offset:416
	global_load_dwordx4 v[12:15], v[0:1], off offset:400
	v_mul_lo_u16_sdwa v0, v76, s5 dst_sel:DWORD dst_unused:UNUSED_PAD src0_sel:BYTE_0 src1_sel:DWORD
	v_lshrrev_b16_e32 v3, 13, v0
	v_mul_lo_u16_e32 v0, 60, v3
	v_sub_u16_e32 v0, v76, v0
	v_and_b32_e32 v4, 0xff, v0
	v_mad_u64_u32 v[0:1], s[22:23], v4, 40, s[6:7]
	s_mov_b32 s5, 0x8889
	global_load_dwordx2 v[198:199], v[0:1], off offset:432
	global_load_dwordx4 v[32:35], v[0:1], off offset:416
	global_load_dwordx4 v[36:39], v[0:1], off offset:400
	v_mul_u32_u24_sdwa v0, v78, s5 dst_sel:DWORD dst_unused:UNUSED_PAD src0_sel:WORD_0 src1_sel:DWORD
	v_lshrrev_b32_e32 v5, 21, v0
	v_mul_lo_u16_e32 v0, 60, v5
	v_sub_u16_e32 v6, v78, v0
	v_mul_lo_u16_e32 v0, 40, v6
	v_mov_b32_e32 v1, v241
	v_lshl_add_u64 v[0:1], s[6:7], 0, v[0:1]
	global_load_dwordx2 v[112:113], v[0:1], off offset:432
	global_load_dwordx4 v[40:43], v[0:1], off offset:416
	global_load_dwordx4 v[44:47], v[0:1], off offset:400
	v_mul_u32_u24_sdwa v0, v116, s5 dst_sel:DWORD dst_unused:UNUSED_PAD src0_sel:WORD_0 src1_sel:DWORD
	v_lshrrev_b32_e32 v7, 21, v0
	v_mul_lo_u16_e32 v0, 60, v7
	v_sub_u16_e32 v8, v116, v0
	v_mul_lo_u16_e32 v0, 40, v8
	v_mov_b32_e32 v1, v241
	v_lshl_add_u64 v[0:1], s[6:7], 0, v[0:1]
	global_load_dwordx2 v[102:103], v[0:1], off offset:432
	global_load_dwordx4 v[56:59], v[0:1], off offset:416
	global_load_dwordx4 v[60:63], v[0:1], off offset:400
	v_mul_u32_u24_e32 v0, 0x8889, v77
	v_lshrrev_b32_e32 v9, 21, v0
	v_mul_lo_u16_e32 v0, 60, v9
	v_sub_u16_e32 v10, v77, v0
	v_mul_lo_u16_e32 v0, 40, v10
	v_mov_b32_e32 v1, v241
	v_lshl_add_u64 v[0:1], s[6:7], 0, v[0:1]
	global_load_dwordx2 v[84:85], v[0:1], off offset:432
	global_load_dwordx4 v[72:75], v[0:1], off offset:416
	global_load_dwordx4 v[76:79], v[0:1], off offset:400
	v_cmp_lt_u16_e32 vcc, 59, v180
	v_mov_b32_e32 v0, 0x168
	s_movk_i32 s5, 0x168
	v_cndmask_b32_e32 v0, 0, v0, vcc
	v_add_lshl_u32 v55, v2, v0, 3
	v_mul_u32_u24_e32 v0, 0x168, v3
	v_add_lshl_u32 v51, v0, v4, 3
	v_mad_legacy_u16 v0, v5, s5, v6
	v_lshlrev_b32_e32 v31, 3, v0
	v_mad_legacy_u16 v0, v7, s5, v8
	v_lshlrev_b32_e32 v27, 3, v0
	;; [unrolled: 2-line block ×3, first 2 shown]
	ds_read2_b64 v[80:83], v242 offset0:128 offset1:224
	ds_read2_b64 v[0:3], v201 offset1:96
	ds_read2_b64 v[90:93], v254 offset0:64 offset1:160
	ds_read2_b64 v[4:7], v203 offset0:64 offset1:160
	ds_read2_b64 v[86:89], v247 offset1:96
	ds_read2_b64 v[98:101], v245 offset0:128 offset1:224
	s_movk_i32 s22, 0xffb8
	s_mov_b32 s23, -1
	v_accvgpr_write_b32 a77, v31
	v_accvgpr_write_b32 a99, v23
	;; [unrolled: 1-line block ×5, first 2 shown]
	v_mov_b32_e32 v189, v202
	v_mov_b32_e32 v185, v191
	s_mov_b32 s5, s2
	s_waitcnt vmcnt(14)
	v_accvgpr_write_b32 a130, v192
	v_accvgpr_write_b32 a131, v193
	s_waitcnt vmcnt(12)
	v_accvgpr_write_b32 a138, v15
	v_accvgpr_write_b32 a146, v251
	s_waitcnt vmcnt(11)
	v_accvgpr_write_b32 a124, v198
	s_waitcnt vmcnt(10)
	;; [unrolled: 2-line block ×3, first 2 shown]
	v_accvgpr_write_b32 a136, v39
	v_accvgpr_write_b32 a125, v199
	s_waitcnt vmcnt(8)
	v_accvgpr_write_b32 a104, v112
	v_accvgpr_write_b32 a105, v113
	s_waitcnt vmcnt(7)
	v_accvgpr_write_b32 a142, v43
	s_waitcnt vmcnt(6)
	;; [unrolled: 2-line block ×3, first 2 shown]
	v_accvgpr_write_b32 a102, v102
	v_accvgpr_write_b32 a103, v103
	s_waitcnt vmcnt(4)
	v_accvgpr_write_b32 a140, v59
	s_waitcnt vmcnt(3)
	;; [unrolled: 2-line block ×3, first 2 shown]
	v_accvgpr_write_b32 a101, v85
	v_accvgpr_write_b32 a100, v84
	s_waitcnt vmcnt(0) lgkmcnt(4)
	v_pk_mul_f32 v[8:9], v[2:3], v[76:77] op_sel_hi:[1,0]
	v_mov_b32_e32 v10, v77
	v_pk_fma_f32 v[120:121], v[2:3], v[10:11], v[8:9] op_sel:[0,0,1] op_sel_hi:[1,1,0]
	v_pk_fma_f32 v[2:3], v[2:3], v[76:77], v[8:9] op_sel:[0,1,1] op_sel_hi:[1,1,0] neg_lo:[1,0,0] neg_hi:[1,0,0]
	v_mov_b32_e32 v8, v79
	v_mov_b32_e32 v121, v3
	s_waitcnt lgkmcnt(3)
	v_pk_mul_f32 v[2:3], v[90:91], v[8:9] op_sel_hi:[1,0]
	v_mov_b32_e32 v8, v73
	v_pk_fma_f32 v[130:131], v[90:91], v[78:79], v[2:3] op_sel:[0,0,1] op_sel_hi:[1,1,0] neg_lo:[0,0,1] neg_hi:[0,0,1]
	v_pk_fma_f32 v[2:3], v[90:91], v[78:79], v[2:3] op_sel:[0,0,1] op_sel_hi:[1,0,0]
	v_accvgpr_write_b32 a118, v79
	v_mov_b32_e32 v131, v3
	s_waitcnt lgkmcnt(2)
	v_pk_mul_f32 v[2:3], v[6:7], v[72:73] op_sel_hi:[1,0]
	v_mov_b32_e32 v79, v244
	v_pk_fma_f32 v[124:125], v[6:7], v[8:9], v[2:3] op_sel:[0,0,1] op_sel_hi:[1,1,0]
	v_pk_fma_f32 v[2:3], v[6:7], v[72:73], v[2:3] op_sel:[0,1,1] op_sel_hi:[1,1,0] neg_lo:[1,0,0] neg_hi:[1,0,0]
	v_mov_b32_e32 v6, v75
	v_mov_b32_e32 v125, v3
	s_waitcnt lgkmcnt(1)
	v_pk_mul_f32 v[2:3], v[86:87], v[6:7] op_sel_hi:[1,0]
	v_mov_b32_e32 v6, v85
	v_pk_fma_f32 v[126:127], v[86:87], v[74:75], v[2:3] op_sel:[0,0,1] op_sel_hi:[1,1,0] neg_lo:[0,0,1] neg_hi:[0,0,1]
	v_pk_fma_f32 v[2:3], v[86:87], v[74:75], v[2:3] op_sel:[0,0,1] op_sel_hi:[1,0,0]
	v_accvgpr_write_b32 a122, v75
	v_mov_b32_e32 v127, v3
	s_waitcnt lgkmcnt(0)
	v_pk_mul_f32 v[2:3], v[100:101], v[84:85] op_sel_hi:[1,0]
	s_nop 0
	v_pk_fma_f32 v[132:133], v[100:101], v[6:7], v[2:3] op_sel:[0,0,1] op_sel_hi:[1,1,0]
	v_pk_fma_f32 v[2:3], v[100:101], v[84:85], v[2:3] op_sel:[0,1,1] op_sel_hi:[1,1,0] neg_lo:[1,0,0] neg_hi:[1,0,0]
	v_pk_add_f32 v[6:7], v[130:131], v[126:127] neg_lo:[0,1] neg_hi:[0,1]
	v_mov_b32_e32 v133, v3
	v_pk_add_f32 v[2:3], v[130:131], v[126:127]
	v_pk_mul_f32 v[6:7], v[6:7], s[2:3] op_sel_hi:[1,0]
	v_pk_fma_f32 v[2:3], v[2:3], 0.5, v[80:81] op_sel_hi:[1,0,1] neg_lo:[1,0,0] neg_hi:[1,0,0]
	v_pk_add_f32 v[10:11], v[124:125], v[132:133] neg_lo:[0,1] neg_hi:[0,1]
	v_pk_add_f32 v[8:9], v[6:7], v[2:3] op_sel:[1,0] op_sel_hi:[0,1]
	v_pk_add_f32 v[2:3], v[2:3], v[6:7] op_sel:[0,1] op_sel_hi:[1,0] neg_lo:[0,1] neg_hi:[0,1]
	v_pk_add_f32 v[6:7], v[124:125], v[132:133]
	v_pk_mul_f32 v[10:11], v[10:11], s[2:3] op_sel_hi:[1,0]
	v_pk_fma_f32 v[6:7], v[6:7], 0.5, v[120:121] op_sel_hi:[1,0,1] neg_lo:[1,0,0] neg_hi:[1,0,0]
	v_mov_b32_e32 v134, v2
	v_pk_add_f32 v[84:85], v[10:11], v[6:7] op_sel:[1,0] op_sel_hi:[0,1]
	v_pk_add_f32 v[6:7], v[6:7], v[10:11] op_sel:[0,1] op_sel_hi:[1,0] neg_lo:[0,1] neg_hi:[0,1]
	v_mov_b32_e32 v10, v84
	v_mov_b32_e32 v11, v7
	v_mul_f32_e32 v2, 0x3f5db3d7, v6
	v_pk_mul_f32 v[86:87], v[10:11], 0.5 op_sel_hi:[1,0]
	v_fmac_f32_e32 v2, 0.5, v85
	v_pk_fma_f32 v[136:137], v[10:11], s[2:3], v[86:87] op_sel:[0,0,1] op_sel_hi:[1,1,0] neg_lo:[0,0,1] neg_hi:[0,0,1]
	v_mul_f32_e32 v7, 0xbf5db3d7, v85
	ds_read2_b64 v[84:87], v243 offset0:64 offset1:160
	ds_read2_b64 v[106:109], v202 offset0:128 offset1:224
	;; [unrolled: 1-line block ×3, first 2 shown]
	v_fmac_f32_e32 v7, 0.5, v6
	v_add_f32_e32 v128, v8, v2
	v_add_f32_e32 v129, v3, v7
	v_sub_f32_e32 v90, v8, v2
	v_sub_f32_e32 v91, v3, v7
	v_pk_mul_f32 v[2:3], v[0:1], v[60:61] op_sel_hi:[1,0]
	v_mov_b32_e32 v6, v61
	v_pk_fma_f32 v[138:139], v[0:1], v[6:7], v[2:3] op_sel:[0,0,1] op_sel_hi:[1,1,0]
	v_pk_fma_f32 v[0:1], v[0:1], v[60:61], v[2:3] op_sel:[0,1,1] op_sel_hi:[1,1,0] neg_lo:[1,0,0] neg_hi:[1,0,0]
	v_mov_b32_e32 v2, v63
	v_mov_b32_e32 v139, v1
	s_waitcnt lgkmcnt(1)
	v_pk_mul_f32 v[0:1], v[108:109], v[2:3] op_sel_hi:[1,0]
	v_mov_b32_e32 v2, v57
	v_pk_fma_f32 v[146:147], v[108:109], v[62:63], v[0:1] op_sel:[0,0,1] op_sel_hi:[1,1,0] neg_lo:[0,0,1] neg_hi:[0,0,1]
	v_pk_fma_f32 v[0:1], v[108:109], v[62:63], v[0:1] op_sel:[0,0,1] op_sel_hi:[1,0,0]
	v_mov_b32_e32 v135, v9
	v_mov_b32_e32 v147, v1
	v_pk_mul_f32 v[0:1], v[4:5], v[56:57] op_sel_hi:[1,0]
	v_pk_add_f32 v[122:123], v[134:135], v[136:137] neg_lo:[0,1] neg_hi:[0,1]
	v_pk_fma_f32 v[144:145], v[4:5], v[2:3], v[0:1] op_sel:[0,0,1] op_sel_hi:[1,1,0]
	v_pk_fma_f32 v[0:1], v[4:5], v[56:57], v[0:1] op_sel:[0,1,1] op_sel_hi:[1,1,0] neg_lo:[1,0,0] neg_hi:[1,0,0]
	v_mov_b32_e32 v2, v59
	v_mov_b32_e32 v145, v1
	s_waitcnt lgkmcnt(0)
	v_pk_mul_f32 v[0:1], v[96:97], v[2:3] op_sel_hi:[1,0]
	v_mov_b32_e32 v2, v103
	v_pk_fma_f32 v[148:149], v[96:97], v[58:59], v[0:1] op_sel:[0,0,1] op_sel_hi:[1,1,0] neg_lo:[0,0,1] neg_hi:[0,0,1]
	v_pk_fma_f32 v[0:1], v[96:97], v[58:59], v[0:1] op_sel:[0,0,1] op_sel_hi:[1,0,0]
	v_mov_b32_e32 v63, v203
	v_mov_b32_e32 v149, v1
	v_pk_mul_f32 v[0:1], v[98:99], v[102:103] op_sel_hi:[1,0]
	s_nop 0
	v_pk_fma_f32 v[152:153], v[98:99], v[2:3], v[0:1] op_sel:[0,0,1] op_sel_hi:[1,1,0]
	v_pk_fma_f32 v[0:1], v[98:99], v[102:103], v[0:1] op_sel:[0,1,1] op_sel_hi:[1,1,0] neg_lo:[1,0,0] neg_hi:[1,0,0]
	v_pk_add_f32 v[2:3], v[146:147], v[148:149] neg_lo:[0,1] neg_hi:[0,1]
	v_mov_b32_e32 v153, v1
	v_pk_add_f32 v[0:1], v[146:147], v[148:149]
	v_pk_mul_f32 v[2:3], v[2:3], s[2:3] op_sel_hi:[1,0]
	v_pk_fma_f32 v[0:1], v[0:1], 0.5, v[86:87] op_sel_hi:[1,0,1] neg_lo:[1,0,0] neg_hi:[1,0,0]
	v_pk_add_f32 v[6:7], v[144:145], v[152:153] neg_lo:[0,1] neg_hi:[0,1]
	v_pk_add_f32 v[4:5], v[2:3], v[0:1] op_sel:[1,0] op_sel_hi:[0,1]
	v_pk_add_f32 v[0:1], v[0:1], v[2:3] op_sel:[0,1] op_sel_hi:[1,0] neg_lo:[0,1] neg_hi:[0,1]
	v_pk_add_f32 v[2:3], v[144:145], v[152:153]
	v_pk_mul_f32 v[6:7], v[6:7], s[2:3] op_sel_hi:[1,0]
	v_pk_fma_f32 v[2:3], v[2:3], 0.5, v[138:139] op_sel_hi:[1,0,1] neg_lo:[1,0,0] neg_hi:[1,0,0]
	ds_read2_b64 v[108:111], v255 offset0:64 offset1:160
	ds_read2_b64 v[102:105], v191 offset1:96
	ds_read2_b64 v[98:101], v246 offset0:64 offset1:160
	v_pk_add_f32 v[8:9], v[6:7], v[2:3] op_sel:[1,0] op_sel_hi:[0,1]
	v_pk_add_f32 v[2:3], v[2:3], v[6:7] op_sel:[0,1] op_sel_hi:[1,0] neg_lo:[0,1] neg_hi:[0,1]
	v_mov_b32_e32 v154, v0
	v_mov_b32_e32 v7, v3
	v_mul_f32_e32 v0, 0x3f5db3d7, v2
	v_mul_f32_e32 v3, 0xbf5db3d7, v9
	v_fmac_f32_e32 v0, 0.5, v9
	v_fmac_f32_e32 v3, 0.5, v2
	v_add_f32_e32 v150, v4, v0
	v_add_f32_e32 v151, v1, v3
	v_sub_f32_e32 v140, v4, v0
	v_sub_f32_e32 v141, v1, v3
	s_waitcnt lgkmcnt(2)
	v_pk_mul_f32 v[0:1], v[110:111], v[44:45] op_sel_hi:[1,0]
	v_mov_b32_e32 v2, v45
	v_pk_fma_f32 v[158:159], v[110:111], v[2:3], v[0:1] op_sel:[0,0,1] op_sel_hi:[1,1,0]
	v_pk_fma_f32 v[0:1], v[110:111], v[44:45], v[0:1] op_sel:[0,1,1] op_sel_hi:[1,1,0] neg_lo:[1,0,0] neg_hi:[1,0,0]
	v_mov_b32_e32 v2, v47
	v_mov_b32_e32 v159, v1
	v_pk_mul_f32 v[0:1], v[106:107], v[2:3] op_sel_hi:[1,0]
	v_mov_b32_e32 v2, v41
	v_pk_fma_f32 v[160:161], v[106:107], v[46:47], v[0:1] op_sel:[0,0,1] op_sel_hi:[1,1,0] neg_lo:[0,0,1] neg_hi:[0,0,1]
	v_pk_fma_f32 v[0:1], v[106:107], v[46:47], v[0:1] op_sel:[0,0,1] op_sel_hi:[1,0,0]
	v_mov_b32_e32 v6, v8
	v_mov_b32_e32 v161, v1
	s_waitcnt lgkmcnt(1)
	v_pk_mul_f32 v[0:1], v[104:105], v[40:41] op_sel_hi:[1,0]
	v_pk_mul_f32 v[10:11], v[6:7], 0.5 op_sel_hi:[1,0]
	v_pk_fma_f32 v[162:163], v[104:105], v[2:3], v[0:1] op_sel:[0,0,1] op_sel_hi:[1,1,0]
	v_pk_fma_f32 v[0:1], v[104:105], v[40:41], v[0:1] op_sel:[0,1,1] op_sel_hi:[1,1,0] neg_lo:[1,0,0] neg_hi:[1,0,0]
	v_mov_b32_e32 v2, v43
	v_mov_b32_e32 v163, v1
	v_pk_mul_f32 v[0:1], v[94:95], v[2:3] op_sel_hi:[1,0]
	v_mov_b32_e32 v2, v113
	v_pk_fma_f32 v[168:169], v[94:95], v[42:43], v[0:1] op_sel:[0,0,1] op_sel_hi:[1,1,0] neg_lo:[0,0,1] neg_hi:[0,0,1]
	v_pk_fma_f32 v[0:1], v[94:95], v[42:43], v[0:1] op_sel:[0,0,1] op_sel_hi:[1,0,0]
	v_mov_b32_e32 v155, v5
	v_mov_b32_e32 v169, v1
	s_waitcnt lgkmcnt(0)
	v_pk_mul_f32 v[0:1], v[100:101], v[112:113] op_sel_hi:[1,0]
	v_pk_fma_f32 v[156:157], v[6:7], s[2:3], v[10:11] op_sel:[0,0,1] op_sel_hi:[1,1,0] neg_lo:[0,0,1] neg_hi:[0,0,1]
	v_pk_fma_f32 v[170:171], v[100:101], v[2:3], v[0:1] op_sel:[0,0,1] op_sel_hi:[1,1,0]
	v_pk_fma_f32 v[0:1], v[100:101], v[112:113], v[0:1] op_sel:[0,1,1] op_sel_hi:[1,1,0] neg_lo:[1,0,0] neg_hi:[1,0,0]
	v_pk_add_f32 v[2:3], v[160:161], v[168:169] neg_lo:[0,1] neg_hi:[0,1]
	v_mov_b32_e32 v171, v1
	v_pk_add_f32 v[0:1], v[160:161], v[168:169]
	v_pk_mul_f32 v[2:3], v[2:3], s[2:3] op_sel_hi:[1,0]
	v_pk_fma_f32 v[0:1], v[0:1], 0.5, v[84:85] op_sel_hi:[1,0,1] neg_lo:[1,0,0] neg_hi:[1,0,0]
	v_pk_add_f32 v[6:7], v[162:163], v[170:171] neg_lo:[0,1] neg_hi:[0,1]
	v_pk_add_f32 v[4:5], v[2:3], v[0:1] op_sel:[1,0] op_sel_hi:[0,1]
	v_pk_add_f32 v[0:1], v[0:1], v[2:3] op_sel:[0,1] op_sel_hi:[1,0] neg_lo:[0,1] neg_hi:[0,1]
	v_pk_add_f32 v[2:3], v[162:163], v[170:171]
	v_pk_mul_f32 v[6:7], v[6:7], s[2:3] op_sel_hi:[1,0]
	v_pk_fma_f32 v[2:3], v[2:3], 0.5, v[158:159] op_sel_hi:[1,0,1] neg_lo:[1,0,0] neg_hi:[1,0,0]
	v_mov_b32_e32 v172, v0
	v_pk_add_f32 v[8:9], v[6:7], v[2:3] op_sel:[1,0] op_sel_hi:[0,1]
	v_pk_add_f32 v[2:3], v[2:3], v[6:7] op_sel:[0,1] op_sel_hi:[1,0] neg_lo:[0,1] neg_hi:[0,1]
	ds_read2_b64 v[94:97], v240 offset1:96
	ds_read2_b64 v[110:113], v196 offset0:64 offset1:160
	ds_read2_b64 v[104:107], v244 offset0:128 offset1:224
	v_mov_b32_e32 v7, v3
	v_mul_f32_e32 v3, 0xbf5db3d7, v9
	v_mul_f32_e32 v0, 0x3f5db3d7, v2
	v_fmac_f32_e32 v3, 0.5, v2
	v_fmac_f32_e32 v0, 0.5, v9
	v_add_f32_e32 v167, v1, v3
	v_sub_f32_e32 v101, v1, v3
	v_pk_mul_f32 v[2:3], v[108:109], v[36:37] op_sel:[0,1]
	v_add_f32_e32 v166, v4, v0
	v_sub_f32_e32 v100, v4, v0
	v_pk_fma_f32 v[0:1], v[108:109], v[36:37], v[2:3] op_sel:[0,0,1] op_sel_hi:[1,1,0] neg_lo:[0,0,1] neg_hi:[0,0,1]
	v_pk_fma_f32 v[2:3], v[108:109], v[36:37], v[2:3] op_sel:[0,0,1] op_sel_hi:[1,0,0]
	v_mov_b32_e32 v173, v5
	v_mov_b32_e32 v2, v39
	s_waitcnt lgkmcnt(1)
	v_pk_mul_f32 v[4:5], v[112:113], v[2:3] op_sel_hi:[1,0]
	v_mov_b32_e32 v6, v8
	v_mov_b32_e32 v1, v3
	v_pk_fma_f32 v[2:3], v[112:113], v[38:39], v[4:5] op_sel:[0,0,1] op_sel_hi:[1,1,0] neg_lo:[0,0,1] neg_hi:[0,0,1]
	v_pk_fma_f32 v[4:5], v[112:113], v[38:39], v[4:5] op_sel:[0,0,1] op_sel_hi:[1,0,0]
	v_pk_mul_f32 v[10:11], v[6:7], 0.5 op_sel_hi:[1,0]
	v_mov_b32_e32 v3, v5
	v_pk_mul_f32 v[4:5], v[102:103], v[32:33] op_sel:[0,1]
	v_pk_fma_f32 v[174:175], v[6:7], s[2:3], v[10:11] op_sel:[0,0,1] op_sel_hi:[1,1,0] neg_lo:[0,0,1] neg_hi:[0,0,1]
	v_pk_fma_f32 v[8:9], v[102:103], v[32:33], v[4:5] op_sel:[0,0,1] op_sel_hi:[1,1,0] neg_lo:[0,0,1] neg_hi:[0,0,1]
	v_pk_fma_f32 v[4:5], v[102:103], v[32:33], v[4:5] op_sel:[0,0,1] op_sel_hi:[1,0,0]
	v_mov_b32_e32 v6, v35
	v_mov_b32_e32 v9, v5
	s_waitcnt lgkmcnt(0)
	v_pk_mul_f32 v[4:5], v[106:107], v[6:7] op_sel_hi:[1,0]
	s_nop 0
	v_pk_fma_f32 v[102:103], v[106:107], v[34:35], v[4:5] op_sel:[0,0,1] op_sel_hi:[1,1,0] neg_lo:[0,0,1] neg_hi:[0,0,1]
	v_pk_fma_f32 v[4:5], v[106:107], v[34:35], v[4:5] op_sel:[0,0,1] op_sel_hi:[1,0,0]
	s_barrier
	v_mov_b32_e32 v103, v5
	v_pk_mul_f32 v[4:5], v[98:99], v[198:199] op_sel:[0,1]
	s_nop 0
	v_pk_fma_f32 v[106:107], v[98:99], v[198:199], v[4:5] op_sel:[0,0,1] op_sel_hi:[1,1,0] neg_lo:[0,0,1] neg_hi:[0,0,1]
	v_pk_fma_f32 v[4:5], v[98:99], v[198:199], v[4:5] op_sel:[0,0,1] op_sel_hi:[1,0,0]
	v_pk_mul_f32 v[98:99], v[82:83], v[12:13] op_sel:[0,1]
	v_mov_b32_e32 v107, v5
	v_pk_fma_f32 v[108:109], v[82:83], v[12:13], v[98:99] op_sel:[0,0,1] op_sel_hi:[1,1,0] neg_lo:[0,0,1] neg_hi:[0,0,1]
	v_pk_fma_f32 v[82:83], v[82:83], v[12:13], v[98:99] op_sel:[0,0,1] op_sel_hi:[1,0,0]
	v_mov_b32_e32 v98, v15
	v_mov_b32_e32 v109, v83
	v_pk_mul_f32 v[82:83], v[110:111], v[98:99] op_sel_hi:[1,0]
	v_pk_add_f32 v[4:5], v[96:97], v[2:3]
	v_pk_fma_f32 v[98:99], v[110:111], v[14:15], v[82:83] op_sel:[0,0,1] op_sel_hi:[1,1,0] neg_lo:[0,0,1] neg_hi:[0,0,1]
	v_pk_fma_f32 v[82:83], v[110:111], v[14:15], v[82:83] op_sel:[0,0,1] op_sel_hi:[1,0,0]
	v_pk_add_f32 v[6:7], v[0:1], v[8:9]
	v_mov_b32_e32 v99, v83
	v_pk_mul_f32 v[82:83], v[92:93], v[248:249] op_sel:[0,1]
	v_pk_add_f32 v[4:5], v[4:5], v[102:103]
	v_pk_fma_f32 v[110:111], v[92:93], v[248:249], v[82:83] op_sel:[0,0,1] op_sel_hi:[1,1,0] neg_lo:[0,0,1] neg_hi:[0,0,1]
	v_pk_fma_f32 v[82:83], v[92:93], v[248:249], v[82:83] op_sel:[0,0,1] op_sel_hi:[1,0,0]
	v_mov_b32_e32 v92, v251
	v_mov_b32_e32 v111, v83
	v_pk_mul_f32 v[82:83], v[104:105], v[92:93] op_sel_hi:[1,0]
	v_pk_add_f32 v[6:7], v[6:7], v[106:107]
	v_pk_fma_f32 v[92:93], v[104:105], v[250:251], v[82:83] op_sel:[0,0,1] op_sel_hi:[1,1,0] neg_lo:[0,0,1] neg_hi:[0,0,1]
	v_pk_fma_f32 v[82:83], v[104:105], v[250:251], v[82:83] op_sel:[0,0,1] op_sel_hi:[1,0,0]
	v_pk_add_f32 v[10:11], v[4:5], v[6:7]
	v_mov_b32_e32 v93, v83
	v_pk_mul_f32 v[82:83], v[88:89], v[192:193] op_sel:[0,1]
	v_pk_add_f32 v[4:5], v[4:5], v[6:7] neg_lo:[0,1] neg_hi:[0,1]
	v_pk_fma_f32 v[104:105], v[88:89], v[192:193], v[82:83] op_sel:[0,0,1] op_sel_hi:[1,1,0] neg_lo:[0,0,1] neg_hi:[0,0,1]
	v_pk_fma_f32 v[82:83], v[88:89], v[192:193], v[82:83] op_sel:[0,0,1] op_sel_hi:[1,0,0]
	v_pk_add_f32 v[192:193], v[98:99], v[92:93]
	v_mov_b32_e32 v105, v83
	v_pk_add_f32 v[82:83], v[94:95], v[98:99]
	v_pk_add_f32 v[88:89], v[108:109], v[110:111]
	v_pk_fma_f32 v[94:95], v[192:193], 0.5, v[94:95] op_sel_hi:[1,0,1] neg_lo:[1,0,0] neg_hi:[1,0,0]
	v_pk_add_f32 v[192:193], v[110:111], v[104:105]
	v_pk_add_f32 v[88:89], v[88:89], v[104:105]
	v_pk_fma_f32 v[108:109], v[192:193], 0.5, v[108:109] op_sel_hi:[1,0,1] neg_lo:[1,0,0] neg_hi:[1,0,0]
	v_pk_add_f32 v[104:105], v[110:111], v[104:105] neg_lo:[0,1] neg_hi:[0,1]
	v_pk_add_f32 v[82:83], v[82:83], v[92:93]
	v_pk_add_f32 v[92:93], v[98:99], v[92:93] neg_lo:[0,1] neg_hi:[0,1]
	v_pk_fma_f32 v[110:111], v[104:105], s[2:3], v[108:109] op_sel:[0,0,1] op_sel_hi:[1,0,0]
	v_pk_fma_f32 v[104:105], v[104:105], s[2:3], v[108:109] op_sel:[0,0,1] op_sel_hi:[1,0,0] neg_lo:[1,0,0] neg_hi:[1,0,0]
	v_pk_mul_f32 v[92:93], v[92:93], s[2:3] op_sel_hi:[1,0]
	v_mov_b32_e32 v108, v110
	v_mov_b32_e32 v109, v105
	v_mul_f32_e32 v19, 0xbf5db3d7, v111
	v_pk_add_f32 v[98:99], v[92:93], v[94:95] op_sel:[1,0] op_sel_hi:[0,1]
	v_pk_add_f32 v[92:93], v[94:95], v[92:93] op_sel:[0,1] op_sel_hi:[1,0] neg_lo:[0,1] neg_hi:[0,1]
	v_mul_f32_e32 v15, 0x3f5db3d7, v104
	v_fmac_f32_e32 v19, 0.5, v104
	v_pk_mul_f32 v[104:105], v[108:109], 0.5 op_sel_hi:[1,0]
	v_mov_b32_e32 v94, v92
	v_mov_b32_e32 v95, v99
	v_pk_fma_f32 v[104:105], v[108:109], s[2:3], v[104:105] op_sel:[0,0,1] op_sel_hi:[1,1,0] neg_lo:[0,0,1] neg_hi:[0,0,1]
	v_pk_add_f32 v[112:113], v[82:83], v[88:89]
	v_fmac_f32_e32 v15, 0.5, v111
	v_pk_add_f32 v[108:109], v[94:95], v[104:105]
	v_pk_add_f32 v[82:83], v[82:83], v[88:89] neg_lo:[0,1] neg_hi:[0,1]
	v_add_f32_e32 v110, v98, v15
	v_add_f32_e32 v111, v93, v19
	v_sub_f32_e32 v92, v98, v15
	v_sub_f32_e32 v93, v93, v19
	ds_write2_b64 v55, v[108:109], v[82:83] offset0:120 offset1:180
	v_pk_add_f32 v[82:83], v[94:95], v[104:105] neg_lo:[0,1] neg_hi:[0,1]
	v_add_u32_e32 v15, 0x400, v55
	ds_write2_b64 v15, v[92:93], v[82:83] offset0:112 offset1:172
	v_pk_add_f32 v[92:93], v[8:9], v[106:107]
	v_pk_add_f32 v[82:83], v[2:3], v[102:103]
	v_pk_add_f32 v[2:3], v[2:3], v[102:103] neg_lo:[0,1] neg_hi:[0,1]
	v_pk_fma_f32 v[0:1], v[92:93], 0.5, v[0:1] op_sel_hi:[1,0,1] neg_lo:[1,0,0] neg_hi:[1,0,0]
	v_pk_add_f32 v[8:9], v[8:9], v[106:107] neg_lo:[0,1] neg_hi:[0,1]
	v_pk_fma_f32 v[82:83], v[82:83], 0.5, v[96:97] op_sel_hi:[1,0,1] neg_lo:[1,0,0] neg_hi:[1,0,0]
	v_pk_mul_f32 v[2:3], v[2:3], s[2:3] op_sel_hi:[1,0]
	v_pk_fma_f32 v[92:93], v[8:9], s[2:3], v[0:1] op_sel:[0,0,1] op_sel_hi:[1,0,0]
	v_pk_fma_f32 v[0:1], v[8:9], s[2:3], v[0:1] op_sel:[0,0,1] op_sel_hi:[1,0,0] neg_lo:[1,0,0] neg_hi:[1,0,0]
	v_accvgpr_write_b32 a88, v15
	v_pk_add_f32 v[88:89], v[2:3], v[82:83] op_sel:[1,0] op_sel_hi:[0,1]
	v_pk_add_f32 v[2:3], v[82:83], v[2:3] op_sel:[0,1] op_sel_hi:[1,0] neg_lo:[0,1] neg_hi:[0,1]
	v_mov_b32_e32 v8, v92
	v_mov_b32_e32 v9, v1
	v_mul_f32_e32 v15, 0xbf5db3d7, v93
	v_mov_b32_e32 v82, v2
	v_mul_f32_e32 v2, 0x3f5db3d7, v0
	v_fmac_f32_e32 v15, 0.5, v0
	v_pk_mul_f32 v[0:1], v[8:9], 0.5 op_sel_hi:[1,0]
	v_mov_b32_e32 v83, v89
	v_pk_fma_f32 v[0:1], v[8:9], s[2:3], v[0:1] op_sel:[0,0,1] op_sel_hi:[1,1,0] neg_lo:[0,0,1] neg_hi:[0,0,1]
	v_fmac_f32_e32 v2, 0.5, v93
	v_pk_add_f32 v[8:9], v[82:83], v[0:1]
	ds_write2_b64 v55, v[112:113], v[110:111] offset1:60
	v_add_f32_e32 v92, v88, v2
	v_add_f32_e32 v93, v3, v15
	v_sub_f32_e32 v2, v88, v2
	v_sub_f32_e32 v3, v3, v15
	ds_write2_b64 v51, v[8:9], v[4:5] offset0:120 offset1:180
	v_pk_add_f32 v[0:1], v[82:83], v[0:1] neg_lo:[0,1] neg_hi:[0,1]
	v_add_u32_e32 v4, 0x400, v51
	ds_write2_b64 v4, v[2:3], v[0:1] offset0:112 offset1:172
	v_accvgpr_write_b32 a80, v4
	v_pk_add_f32 v[2:3], v[84:85], v[160:161]
	v_pk_add_f32 v[4:5], v[158:159], v[162:163]
	;; [unrolled: 1-line block ×4, first 2 shown]
	ds_write2_b64 v51, v[10:11], v[92:93] offset1:60
	v_pk_add_f32 v[6:7], v[2:3], v[4:5] op_sel:[0,1] op_sel_hi:[1,0] neg_lo:[0,1] neg_hi:[0,1]
	v_pk_add_f32 v[2:3], v[2:3], v[4:5] op_sel:[0,1] op_sel_hi:[1,0]
	v_pk_add_f32 v[0:1], v[172:173], v[174:175]
	ds_write2_b64 v31, v[2:3], v[166:167] offset1:60
	ds_write2_b64 v31, v[0:1], v[6:7] offset0:120 offset1:180
	v_pk_add_f32 v[2:3], v[86:87], v[146:147]
	v_pk_add_f32 v[4:5], v[138:139], v[144:145]
	;; [unrolled: 1-line block ×4, first 2 shown]
	v_pk_add_f32 v[164:165], v[172:173], v[174:175] neg_lo:[0,1] neg_hi:[0,1]
	v_add_u32_e32 v0, 0x400, v31
	v_pk_add_f32 v[6:7], v[2:3], v[4:5] op_sel:[0,1] op_sel_hi:[1,0] neg_lo:[0,1] neg_hi:[0,1]
	v_pk_add_f32 v[2:3], v[2:3], v[4:5] op_sel:[0,1] op_sel_hi:[1,0]
	ds_write2_b64 v0, v[100:101], v[164:165] offset0:112 offset1:172
	v_accvgpr_write_b32 a76, v0
	v_pk_add_f32 v[0:1], v[154:155], v[156:157]
	ds_write2_b64 v27, v[2:3], v[150:151] offset1:60
	ds_write2_b64 v27, v[0:1], v[6:7] offset0:120 offset1:180
	v_pk_add_f32 v[2:3], v[80:81], v[130:131]
	v_pk_add_f32 v[4:5], v[120:121], v[124:125]
	v_pk_add_f32 v[142:143], v[154:155], v[156:157] neg_lo:[0,1] neg_hi:[0,1]
	v_add_u32_e32 v0, 0x400, v27
	v_pk_add_f32 v[2:3], v[2:3], v[126:127]
	v_pk_add_f32 v[4:5], v[4:5], v[132:133]
	v_lshl_add_u64 v[102:103], s[6:7], 0, v[240:241]
	ds_write2_b64 v0, v[140:141], v[142:143] offset0:112 offset1:172
	v_accvgpr_write_b32 a82, v0
	v_pk_add_f32 v[0:1], v[134:135], v[136:137]
	v_pk_add_f32 v[6:7], v[2:3], v[4:5] op_sel:[0,1] op_sel_hi:[1,0] neg_lo:[0,1] neg_hi:[0,1]
	v_pk_add_f32 v[2:3], v[2:3], v[4:5] op_sel:[0,1] op_sel_hi:[1,0]
	v_add_co_u32_e32 v104, vcc, s11, v102
	ds_write2_b64 v23, v[2:3], v[128:129] offset1:60
	ds_write2_b64 v23, v[0:1], v[6:7] offset0:120 offset1:180
	v_add_u32_e32 v0, 0x400, v23
	v_addc_co_u32_e32 v105, vcc, 0, v103, vcc
	s_movk_i32 s3, 0x48
	ds_write2_b64 v0, v[90:91], v[122:123] offset0:112 offset1:172
	v_accvgpr_write_b32 a97, v0
	v_lshl_add_u64 v[0:1], v[180:181], 0, s[22:23]
	v_cmp_gt_u16_e32 vcc, s3, v180
	s_movk_i32 s3, 0x2d83
	s_waitcnt lgkmcnt(0)
	v_cndmask_b32_e32 v5, v1, v117, vcc
	v_cndmask_b32_e32 v4, v0, v116, vcc
	v_lshl_add_u64 v[0:1], v[4:5], 3, s[6:7]
	s_barrier
	global_load_dwordx2 v[230:231], v240, s[6:7] offset:2800
	global_load_dwordx2 v[236:237], v240, s[6:7] offset:3568
	global_load_dwordx2 v[84:85], v[104:105], off offset:240
	global_load_dwordx2 v[138:139], v[0:1], off offset:2800
	global_load_dwordx2 v[100:101], v240, s[6:7] offset:2992
	global_load_dwordx2 v[238:239], v240, s[6:7] offset:3760
	global_load_dwordx2 v[232:233], v[104:105], off offset:432
	v_mul_u32_u24_sdwa v0, v114, s3 dst_sel:DWORD dst_unused:UNUSED_PAD src0_sel:WORD_0 src1_sel:DWORD
	v_lshrrev_b32_e32 v15, 22, v0
	v_mul_lo_u16_e32 v0, 0x168, v15
	v_sub_u16_e32 v19, v114, v0
	v_lshlrev_b32_e32 v0, 3, v19
	global_load_dwordx2 v[140:141], v0, s[6:7] offset:2800
	v_mul_u32_u24_e32 v0, 0x2d83, v177
	v_lshrrev_b32_e32 v0, 22, v0
	v_mul_lo_u16_e32 v0, 0x168, v0
	v_sub_u16_e32 v0, v177, v0
	v_lshlrev_b32_e32 v31, 3, v0
	v_mul_u32_u24_sdwa v0, v178, s3 dst_sel:DWORD dst_unused:UNUSED_PAD src0_sel:WORD_0 src1_sel:DWORD
	v_lshrrev_b32_e32 v0, 22, v0
	v_mul_lo_u16_e32 v0, 0x168, v0
	v_sub_u16_e32 v0, v178, v0
	v_lshlrev_b32_e32 v35, 3, v0
	v_mul_u32_u24_sdwa v0, v190, s3 dst_sel:DWORD dst_unused:UNUSED_PAD src0_sel:WORD_0 src1_sel:DWORD
	;; [unrolled: 5-line block ×3, first 2 shown]
	v_lshrrev_b32_e32 v23, 22, v0
	v_mul_lo_u16_e32 v0, 0x168, v23
	v_sub_u16_e32 v27, v118, v0
	v_lshlrev_b32_e32 v0, 3, v27
	global_load_dwordx2 v[142:143], v31, s[6:7] offset:2800
	global_load_dwordx2 v[136:137], v35, s[6:7] offset:2800
	;; [unrolled: 1-line block ×4, first 2 shown]
	v_mul_u32_u24_e32 v0, 0x2d83, v176
	v_lshrrev_b32_e32 v0, 22, v0
	v_mul_lo_u16_e32 v0, 0x168, v0
	v_sub_u16_e32 v0, v176, v0
	v_lshlrev_b32_e32 v43, 3, v0
	v_mul_u32_u24_sdwa v0, v179, s3 dst_sel:DWORD dst_unused:UNUSED_PAD src0_sel:WORD_0 src1_sel:DWORD
	v_lshrrev_b32_e32 v0, 22, v0
	v_mul_lo_u16_e32 v0, 0x168, v0
	v_sub_u16_e32 v0, v179, v0
	v_lshlrev_b32_e32 v47, 3, v0
	v_mul_u32_u24_sdwa v0, v119, s3 dst_sel:DWORD dst_unused:UNUSED_PAD src0_sel:WORD_0 src1_sel:DWORD
	v_lshrrev_b32_e32 v0, 22, v0
	v_mul_lo_u16_e32 v0, 0x168, v0
	v_sub_u16_e32 v0, v119, v0
	v_lshlrev_b32_e32 v51, 3, v0
	global_load_dwordx2 v[120:121], v43, s[6:7] offset:2800
	global_load_dwordx2 v[122:123], v47, s[6:7] offset:2800
	;; [unrolled: 1-line block ×3, first 2 shown]
	ds_read2_b64 v[0:3], v240 offset1:96
	ds_read2_b64 v[80:83], v254 offset0:64 offset1:160
	ds_read2_b64 v[88:91], v243 offset0:64 offset1:160
	s_movk_i32 s3, 0x47
	v_cmp_lt_u16_e32 vcc, s3, v180
	v_mov_b32_e32 v5, 0x2d0
	s_movk_i32 s3, 0x2d0
	v_cndmask_b32_e32 v5, 0, v5, vcc
	v_add_lshl_u32 v55, v4, v5, 3
	s_movk_i32 s22, 0xffd0
	s_mov_b32 s23, -1
	v_accvgpr_write_b32 a129, v35
	v_accvgpr_write_b32 a135, v31
	;; [unrolled: 1-line block ×6, first 2 shown]
	v_mov_b32_e32 v251, v245
	v_accvgpr_write_b32 a117, v51
	s_waitcnt vmcnt(14) lgkmcnt(1)
	v_pk_mul_f32 v[6:7], v[82:83], v[230:231] op_sel:[0,1]
	s_nop 0
	v_pk_fma_f32 v[8:9], v[82:83], v[230:231], v[6:7] op_sel:[0,0,1] op_sel_hi:[1,1,0] neg_lo:[0,0,1] neg_hi:[0,0,1]
	v_pk_fma_f32 v[6:7], v[82:83], v[230:231], v[6:7] op_sel:[0,0,1] op_sel_hi:[1,0,0]
	s_waitcnt vmcnt(12)
	v_accvgpr_write_b32 a149, v85
	v_mov_b32_e32 v9, v7
	v_pk_add_f32 v[106:107], v[0:1], v[8:9] neg_lo:[0,1] neg_hi:[0,1]
	ds_read2_b64 v[6:9], v191 offset1:96
	v_pk_fma_f32 v[108:109], v[0:1], 2.0, v[106:107] op_sel_hi:[1,0,1] neg_lo:[0,0,1] neg_hi:[0,0,1]
	v_accvgpr_write_b32 a148, v84
	s_waitcnt vmcnt(10)
	v_accvgpr_write_b32 a151, v101
	v_accvgpr_write_b32 a150, v100
	s_waitcnt lgkmcnt(0)
	v_pk_mul_f32 v[0:1], v[6:7], v[236:237] op_sel:[0,1]
	s_waitcnt vmcnt(7)
	v_accvgpr_write_b32 a165, v141
	v_pk_fma_f32 v[10:11], v[6:7], v[236:237], v[0:1] op_sel:[0,0,1] op_sel_hi:[1,1,0] neg_lo:[0,0,1] neg_hi:[0,0,1]
	v_pk_fma_f32 v[0:1], v[6:7], v[236:237], v[0:1] op_sel:[0,0,1] op_sel_hi:[1,0,0]
	v_pk_mul_f32 v[6:7], v[8:9], v[84:85] op_sel:[0,1]
	v_mov_b32_e32 v11, v1
	v_pk_add_f32 v[0:1], v[2:3], v[10:11] neg_lo:[0,1] neg_hi:[0,1]
	v_pk_fma_f32 v[10:11], v[8:9], v[84:85], v[6:7] op_sel:[0,0,1] op_sel_hi:[1,1,0] neg_lo:[0,0,1] neg_hi:[0,0,1]
	v_pk_fma_f32 v[6:7], v[8:9], v[84:85], v[6:7] op_sel:[0,0,1] op_sel_hi:[1,0,0]
	ds_read2_b64 v[82:85], v255 offset0:64 offset1:160
	ds_read2_b64 v[92:95], v244 offset0:128 offset1:224
	v_mov_b32_e32 v11, v7
	ds_read2_b64 v[96:99], v203 offset0:64 offset1:160
	v_pk_add_f32 v[6:7], v[88:89], v[10:11] neg_lo:[0,1] neg_hi:[0,1]
	v_pk_fma_f32 v[2:3], v[2:3], 2.0, v[0:1] op_sel_hi:[1,0,1] neg_lo:[0,0,1] neg_hi:[0,0,1]
	s_waitcnt lgkmcnt(1)
	v_pk_mul_f32 v[4:5], v[94:95], v[232:233] op_sel:[0,1]
	v_pk_fma_f32 v[8:9], v[88:89], 2.0, v[6:7] op_sel_hi:[1,0,1] neg_lo:[0,0,1] neg_hi:[0,0,1]
	v_pk_fma_f32 v[10:11], v[94:95], v[232:233], v[4:5] op_sel:[0,0,1] op_sel_hi:[1,1,0] neg_lo:[0,0,1] neg_hi:[0,0,1]
	v_pk_fma_f32 v[4:5], v[94:95], v[232:233], v[4:5] op_sel:[0,0,1] op_sel_hi:[1,0,0]
	ds_read2_b64 v[86:89], v242 offset0:128 offset1:224
	v_mov_b32_e32 v11, v5
	v_pk_add_f32 v[4:5], v[82:83], v[10:11] neg_lo:[0,1] neg_hi:[0,1]
	v_pk_mul_f32 v[10:11], v[92:93], v[238:239] op_sel:[0,1]
	s_waitcnt vmcnt(3)
	v_accvgpr_write_b32 a157, v127
	v_pk_fma_f32 v[94:95], v[92:93], v[238:239], v[10:11] op_sel:[0,0,1] op_sel_hi:[1,1,0] neg_lo:[0,0,1] neg_hi:[0,0,1]
	v_pk_fma_f32 v[10:11], v[92:93], v[238:239], v[10:11] op_sel:[0,0,1] op_sel_hi:[1,0,0]
	v_accvgpr_write_b32 a156, v126
	v_mov_b32_e32 v95, v11
	s_waitcnt lgkmcnt(1)
	v_pk_mul_f32 v[10:11], v[98:99], v[100:101] op_sel:[0,1]
	s_waitcnt lgkmcnt(0)
	v_pk_add_f32 v[110:111], v[88:89], v[94:95] neg_lo:[0,1] neg_hi:[0,1]
	v_pk_fma_f32 v[92:93], v[98:99], v[100:101], v[10:11] op_sel:[0,0,1] op_sel_hi:[1,1,0] neg_lo:[0,0,1] neg_hi:[0,0,1]
	v_pk_fma_f32 v[10:11], v[98:99], v[100:101], v[10:11] op_sel:[0,0,1] op_sel_hi:[1,0,0]
	ds_read2_b64 v[98:101], v245 offset0:128 offset1:224
	v_mad_legacy_u16 v10, v15, s3, v19
	v_lshlrev_b32_e32 v19, 3, v10
	v_mad_legacy_u16 v10, v23, s3, v27
	v_mov_b32_e32 v93, v11
	v_lshlrev_b32_e32 v15, 3, v10
	v_pk_add_f32 v[112:113], v[86:87], v[92:93] neg_lo:[0,1] neg_hi:[0,1]
	s_waitcnt vmcnt(2)
	v_accvgpr_write_b32 a155, v121
	s_waitcnt vmcnt(1)
	v_accvgpr_write_b32 a153, v123
	s_waitcnt vmcnt(0) lgkmcnt(0)
	v_pk_mul_f32 v[10:11], v[100:101], v[234:235] op_sel:[0,1]
	v_accvgpr_write_b32 a152, v122
	v_pk_fma_f32 v[92:93], v[100:101], v[234:235], v[10:11] op_sel:[0,0,1] op_sel_hi:[1,1,0] neg_lo:[0,0,1] neg_hi:[0,0,1]
	v_pk_fma_f32 v[10:11], v[100:101], v[234:235], v[10:11] op_sel:[0,0,1] op_sel_hi:[1,0,0]
	v_accvgpr_write_b32 a154, v120
	v_mov_b32_e32 v93, v11
	v_pk_mul_f32 v[10:11], v[98:99], v[122:123] op_sel:[0,1]
	v_pk_add_f32 v[116:117], v[80:81], v[92:93] neg_lo:[0,1] neg_hi:[0,1]
	v_pk_fma_f32 v[100:101], v[98:99], v[122:123], v[10:11] op_sel:[0,0,1] op_sel_hi:[1,1,0] neg_lo:[0,0,1] neg_hi:[0,0,1]
	v_pk_fma_f32 v[10:11], v[98:99], v[122:123], v[10:11] op_sel:[0,0,1] op_sel_hi:[1,0,0]
	ds_read2_b64 v[122:125], v246 offset0:64 offset1:160
	ds_read2_b64 v[92:95], v202 offset0:128 offset1:224
	v_mov_b32_e32 v101, v11
	v_accvgpr_write_b32 a159, v133
	v_accvgpr_write_b32 a158, v132
	s_waitcnt lgkmcnt(1)
	v_pk_mul_f32 v[10:11], v[124:125], v[120:121] op_sel:[0,1]
	s_waitcnt lgkmcnt(0)
	v_pk_add_f32 v[118:119], v[94:95], v[100:101] neg_lo:[0,1] neg_hi:[0,1]
	v_pk_fma_f32 v[98:99], v[124:125], v[120:121], v[10:11] op_sel:[0,0,1] op_sel_hi:[1,1,0] neg_lo:[0,0,1] neg_hi:[0,0,1]
	v_pk_fma_f32 v[10:11], v[124:125], v[120:121], v[10:11] op_sel:[0,0,1] op_sel_hi:[1,0,0]
	v_accvgpr_write_b32 a161, v137
	v_mov_b32_e32 v99, v11
	v_pk_add_f32 v[120:121], v[92:93], v[98:99] neg_lo:[0,1] neg_hi:[0,1]
	ds_read2_b64 v[98:101], v196 offset0:64 offset1:160
	v_pk_mul_f32 v[10:11], v[122:123], v[126:127] op_sel:[0,1]
	v_accvgpr_write_b32 a160, v136
	v_pk_fma_f32 v[124:125], v[122:123], v[126:127], v[10:11] op_sel:[0,0,1] op_sel_hi:[1,1,0] neg_lo:[0,0,1] neg_hi:[0,0,1]
	v_pk_fma_f32 v[10:11], v[122:123], v[126:127], v[10:11] op_sel:[0,0,1] op_sel_hi:[1,0,0]
	v_accvgpr_write_b32 a123, v15
	v_mov_b32_e32 v125, v11
	s_waitcnt lgkmcnt(0)
	v_pk_add_f32 v[122:123], v[100:101], v[124:125] neg_lo:[0,1] neg_hi:[0,1]
	ds_read2_b64 v[124:127], v247 offset1:96
	v_mov_b32_e32 v23, v194
	v_accvgpr_write_b32 a137, v19
	v_mov_b32_e32 v27, v246
	v_accvgpr_write_b32 a163, v143
	s_waitcnt lgkmcnt(0)
	v_pk_mul_f32 v[10:11], v[126:127], v[132:133] op_sel:[0,1]
	v_pk_mul_f32 v[130:131], v[124:125], v[136:137] op_sel:[0,1]
	v_pk_fma_f32 v[128:129], v[126:127], v[132:133], v[10:11] op_sel:[0,0,1] op_sel_hi:[1,1,0] neg_lo:[0,0,1] neg_hi:[0,0,1]
	v_pk_fma_f32 v[10:11], v[126:127], v[132:133], v[10:11] op_sel:[0,0,1] op_sel_hi:[1,0,0]
	v_pk_fma_f32 v[132:133], v[124:125], v[136:137], v[130:131] op_sel:[0,0,1] op_sel_hi:[1,1,0] neg_lo:[0,0,1] neg_hi:[0,0,1]
	v_mov_b32_e32 v129, v11
	v_pk_add_f32 v[10:11], v[98:99], v[128:129] neg_lo:[0,1] neg_hi:[0,1]
	ds_read2_b64 v[126:129], v201 offset1:96
	v_pk_fma_f32 v[124:125], v[124:125], v[136:137], v[130:131] op_sel:[0,0,1] op_sel_hi:[1,0,0]
	v_accvgpr_write_b32 a162, v142
	v_mov_b32_e32 v133, v125
	v_accvgpr_write_b32 a164, v140
	s_waitcnt lgkmcnt(0)
	v_pk_add_f32 v[124:125], v[128:129], v[132:133] neg_lo:[0,1] neg_hi:[0,1]
	ds_read2_b64 v[130:133], v195 offset0:64 offset1:160
	s_waitcnt lgkmcnt(0)
	s_barrier
	ds_write_b64 v240, v[106:107] offset:2880
	ds_write2_b64 v240, v[108:109], v[2:3] offset1:96
	ds_write_b64 v240, v[8:9] offset:1536
	v_pk_mul_f32 v[134:135], v[132:133], v[142:143] op_sel:[0,1]
	v_add_u32_e32 v2, 0xc00, v240
	v_pk_fma_f32 v[136:137], v[132:133], v[142:143], v[134:135] op_sel:[0,0,1] op_sel_hi:[1,1,0] neg_lo:[0,0,1] neg_hi:[0,0,1]
	v_pk_fma_f32 v[132:133], v[132:133], v[142:143], v[134:135] op_sel:[0,0,1] op_sel_hi:[1,0,0]
	v_pk_mul_f32 v[134:135], v[130:131], v[140:141] op_sel:[0,1]
	v_mov_b32_e32 v137, v133
	v_pk_add_f32 v[132:133], v[126:127], v[136:137] neg_lo:[0,1] neg_hi:[0,1]
	v_pk_fma_f32 v[136:137], v[130:131], v[140:141], v[134:135] op_sel:[0,0,1] op_sel_hi:[1,1,0] neg_lo:[0,0,1] neg_hi:[0,0,1]
	v_pk_fma_f32 v[130:131], v[130:131], v[140:141], v[134:135] op_sel:[0,0,1] op_sel_hi:[1,0,0]
	v_pk_mul_f32 v[134:135], v[96:97], v[138:139] op_sel:[0,1]
	v_mov_b32_e32 v137, v131
	v_pk_add_f32 v[130:131], v[84:85], v[136:137] neg_lo:[0,1] neg_hi:[0,1]
	v_pk_fma_f32 v[136:137], v[96:97], v[138:139], v[134:135] op_sel:[0,0,1] op_sel_hi:[1,1,0] neg_lo:[0,0,1] neg_hi:[0,0,1]
	v_pk_fma_f32 v[96:97], v[96:97], v[138:139], v[134:135] op_sel:[0,0,1] op_sel_hi:[1,0,0]
	ds_write2_b64 v2, v[0:1], v[6:7] offset0:72 offset1:168
	v_mov_b32_e32 v137, v97
	v_pk_add_f32 v[96:97], v[90:91], v[136:137] neg_lo:[0,1] neg_hi:[0,1]
	v_mov_b32_e32 v59, v2
	v_pk_fma_f32 v[90:91], v[90:91], 2.0, v[96:97] op_sel_hi:[1,0,1] neg_lo:[0,0,1] neg_hi:[0,0,1]
	v_pk_fma_f32 v[0:1], v[86:87], 2.0, v[112:113] op_sel_hi:[1,0,1] neg_lo:[0,0,1] neg_hi:[0,0,1]
	;; [unrolled: 1-line block ×3, first 2 shown]
	ds_write_b64 v55, v[90:91]
	ds_write_b64 v55, v[96:97] offset:2880
	ds_write2_b64 v194, v[0:1], v[2:3] offset0:104 offset1:200
	v_pk_fma_f32 v[0:1], v[82:83], 2.0, v[4:5] op_sel_hi:[1,0,1] neg_lo:[0,0,1] neg_hi:[0,0,1]
	ds_write2_b64 v196, v[0:1], v[112:113] offset0:40 offset1:208
	ds_write2_b64 v197, v[110:111], v[4:5] offset0:48 offset1:144
	v_pk_fma_f32 v[0:1], v[84:85], 2.0, v[130:131] op_sel_hi:[1,0,1] neg_lo:[0,0,1] neg_hi:[0,0,1]
	ds_write_b64 v19, v[0:1]
	ds_write_b64 v19, v[130:131] offset:2880
	v_pk_fma_f32 v[0:1], v[126:127], 2.0, v[132:133] op_sel_hi:[1,0,1] neg_lo:[0,0,1] neg_hi:[0,0,1]
	ds_write_b64 v31, v[0:1] offset:11520
	ds_write_b64 v31, v[132:133] offset:14400
	v_pk_fma_f32 v[0:1], v[128:129], 2.0, v[124:125] op_sel_hi:[1,0,1] neg_lo:[0,0,1] neg_hi:[0,0,1]
	ds_write_b64 v35, v[0:1] offset:11520
	;; [unrolled: 3-line block ×3, first 2 shown]
	ds_write_b64 v39, v[10:11] offset:14400
	v_pk_fma_f32 v[0:1], v[100:101], 2.0, v[122:123] op_sel_hi:[1,0,1] neg_lo:[0,0,1] neg_hi:[0,0,1]
	ds_write_b64 v15, v[0:1]
	ds_write_b64 v15, v[122:123] offset:2880
	v_pk_fma_f32 v[0:1], v[92:93], 2.0, v[120:121] op_sel_hi:[1,0,1] neg_lo:[0,0,1] neg_hi:[0,0,1]
	ds_write_b64 v43, v[0:1] offset:17280
	ds_write_b64 v43, v[120:121] offset:20160
	v_pk_fma_f32 v[0:1], v[94:95], 2.0, v[118:119] op_sel_hi:[1,0,1] neg_lo:[0,0,1] neg_hi:[0,0,1]
	v_add_co_u32_e32 v92, vcc, s18, v102
	ds_write_b64 v47, v[0:1] offset:17280
	ds_write_b64 v47, v[118:119] offset:20160
	v_pk_fma_f32 v[0:1], v[80:81], 2.0, v[116:117] op_sel_hi:[1,0,1] neg_lo:[0,0,1] neg_hi:[0,0,1]
	v_addc_co_u32_e32 v93, vcc, 0, v103, vcc
	ds_write_b64 v51, v[0:1] offset:17280
	ds_write_b64 v51, v[116:117] offset:20160
	s_waitcnt lgkmcnt(0)
	s_barrier
	global_load_dwordx2 v[210:211], v[104:105], off offset:1584
	global_load_dwordx2 v[218:219], v[104:105], off offset:2352
	;; [unrolled: 1-line block ×7, first 2 shown]
	v_lshl_add_u64 v[0:1], v[180:181], 0, s[22:23]
	v_cmp_gt_u16_e32 vcc, 48, v180
	v_mov_b32_e32 v19, v196
	v_mov_b32_e32 v35, v197
	v_cndmask_b32_e32 v7, v1, v115, vcc
	v_cndmask_b32_e32 v6, v0, v114, vcc
	v_lshl_add_u64 v[0:1], v[6:7], 3, s[6:7]
	v_add_co_u32_e32 v0, vcc, s11, v0
	v_mov_b32_e32 v7, 0x5a0
	s_nop 0
	v_addc_co_u32_e32 v1, vcc, 0, v1, vcc
	global_load_dwordx2 v[228:229], v[0:1], off offset:1584
	global_load_dwordx2 v[226:227], v[104:105], off offset:1968
	;; [unrolled: 1-line block ×8, first 2 shown]
	ds_read2_b64 v[84:87], v255 offset0:64 offset1:160
	ds_read2_b64 v[2:5], v244 offset0:128 offset1:224
	;; [unrolled: 1-line block ×4, first 2 shown]
	v_cmp_lt_u16_e32 vcc, 47, v180
	v_mov_b32_e32 v39, v19
	v_accvgpr_write_b32 a167, v139
	v_cndmask_b32_e32 v7, 0, v7, vcc
	v_add_lshl_u32 v15, v6, v7, 3
	v_accvgpr_write_b32 a141, v15
	v_accvgpr_write_b32 a166, v138
	v_mov_b32_e32 v47, v27
	v_mov_b32_e32 v55, v254
	;; [unrolled: 1-line block ×4, first 2 shown]
	s_mov_b32 s6, -0.5
	s_mov_b32 s7, s2
	s_waitcnt vmcnt(8) lgkmcnt(2)
	v_pk_mul_f32 v[0:1], v[4:5], v[10:11] op_sel:[0,1]
	s_nop 0
	v_pk_fma_f32 v[8:9], v[4:5], v[10:11], v[0:1] op_sel:[0,0,1] op_sel_hi:[1,1,0] neg_lo:[0,0,1] neg_hi:[0,0,1]
	v_pk_fma_f32 v[0:1], v[4:5], v[10:11], v[0:1] op_sel:[0,0,1] op_sel_hi:[1,0,0]
	v_pk_mul_f32 v[4:5], v[2:3], v[204:205] op_sel:[0,1]
	v_mov_b32_e32 v9, v1
	v_pk_add_f32 v[0:1], v[84:85], v[8:9] neg_lo:[0,1] neg_hi:[0,1]
	v_pk_fma_f32 v[8:9], v[2:3], v[204:205], v[4:5] op_sel:[0,0,1] op_sel_hi:[1,1,0] neg_lo:[0,0,1] neg_hi:[0,0,1]
	v_pk_fma_f32 v[2:3], v[2:3], v[204:205], v[4:5] op_sel:[0,0,1] op_sel_hi:[1,0,0]
	s_waitcnt lgkmcnt(1)
	v_pk_mul_f32 v[4:5], v[98:99], v[206:207] op_sel:[0,1]
	v_mov_b32_e32 v9, v3
	s_waitcnt lgkmcnt(0)
	v_pk_add_f32 v[2:3], v[90:91], v[8:9] neg_lo:[0,1] neg_hi:[0,1]
	v_pk_fma_f32 v[8:9], v[98:99], v[206:207], v[4:5] op_sel:[0,0,1] op_sel_hi:[1,1,0] neg_lo:[0,0,1] neg_hi:[0,0,1]
	v_pk_fma_f32 v[4:5], v[98:99], v[206:207], v[4:5] op_sel:[0,0,1] op_sel_hi:[1,0,0]
	ds_read2_b64 v[98:101], v240 offset1:96
	ds_read2_b64 v[80:83], v254 offset0:64 offset1:160
	ds_read2_b64 v[104:107], v191 offset1:96
	v_mov_b32_e32 v9, v5
	v_pk_add_f32 v[4:5], v[88:89], v[8:9] neg_lo:[0,1] neg_hi:[0,1]
	ds_read2_b64 v[112:115], v243 offset0:64 offset1:160
	s_waitcnt lgkmcnt(2)
	v_pk_mul_f32 v[8:9], v[82:83], v[210:211] op_sel:[0,1]
	ds_read2_b64 v[120:123], v246 offset0:64 offset1:160
	v_pk_fma_f32 v[94:95], v[82:83], v[210:211], v[8:9] op_sel:[0,0,1] op_sel_hi:[1,1,0] neg_lo:[0,0,1] neg_hi:[0,0,1]
	v_pk_fma_f32 v[8:9], v[82:83], v[210:211], v[8:9] op_sel:[0,0,1] op_sel_hi:[1,0,0]
	s_waitcnt lgkmcnt(2)
	v_pk_mul_f32 v[82:83], v[104:105], v[218:219] op_sel:[0,1]
	v_mov_b32_e32 v95, v9
	v_pk_add_f32 v[8:9], v[98:99], v[94:95] neg_lo:[0,1] neg_hi:[0,1]
	v_pk_fma_f32 v[108:109], v[84:85], 2.0, v[0:1] op_sel_hi:[1,0,1] neg_lo:[0,0,1] neg_hi:[0,0,1]
	v_pk_fma_f32 v[94:95], v[98:99], 2.0, v[8:9] op_sel_hi:[1,0,1] neg_lo:[0,0,1] neg_hi:[0,0,1]
	v_pk_fma_f32 v[98:99], v[104:105], v[218:219], v[82:83] op_sel:[0,0,1] op_sel_hi:[1,1,0] neg_lo:[0,0,1] neg_hi:[0,0,1]
	v_pk_fma_f32 v[82:83], v[104:105], v[218:219], v[82:83] op_sel:[0,0,1] op_sel_hi:[1,0,0]
	s_waitcnt vmcnt(3) lgkmcnt(0)
	v_pk_mul_f32 v[116:117], v[120:121], v[214:215] op_sel:[0,1]
	v_mov_b32_e32 v99, v83
	v_pk_mul_f32 v[82:83], v[106:107], v[222:223] op_sel:[0,1]
	v_pk_add_f32 v[98:99], v[100:101], v[98:99] neg_lo:[0,1] neg_hi:[0,1]
	v_pk_fma_f32 v[104:105], v[106:107], v[222:223], v[82:83] op_sel:[0,0,1] op_sel_hi:[1,1,0] neg_lo:[0,0,1] neg_hi:[0,0,1]
	v_pk_fma_f32 v[82:83], v[106:107], v[222:223], v[82:83] op_sel:[0,0,1] op_sel_hi:[1,0,0]
	v_pk_fma_f32 v[100:101], v[100:101], 2.0, v[98:99] op_sel_hi:[1,0,1] neg_lo:[0,0,1] neg_hi:[0,0,1]
	v_mov_b32_e32 v105, v83
	v_pk_mul_f32 v[82:83], v[96:97], v[224:225] op_sel:[0,1]
	v_pk_add_f32 v[110:111], v[112:113], v[104:105] neg_lo:[0,1] neg_hi:[0,1]
	v_pk_fma_f32 v[106:107], v[96:97], v[224:225], v[82:83] op_sel:[0,0,1] op_sel_hi:[1,1,0] neg_lo:[0,0,1] neg_hi:[0,0,1]
	v_pk_fma_f32 v[82:83], v[96:97], v[224:225], v[82:83] op_sel:[0,0,1] op_sel_hi:[1,0,0]
	v_pk_fma_f32 v[104:105], v[112:113], 2.0, v[110:111] op_sel_hi:[1,0,1] neg_lo:[0,0,1] neg_hi:[0,0,1]
	v_mov_b32_e32 v107, v83
	v_pk_add_f32 v[118:119], v[114:115], v[106:107] neg_lo:[0,1] neg_hi:[0,1]
	v_pk_fma_f32 v[112:113], v[88:89], 2.0, v[4:5] op_sel_hi:[1,0,1] neg_lo:[0,0,1] neg_hi:[0,0,1]
	v_pk_fma_f32 v[130:131], v[114:115], 2.0, v[118:119] op_sel_hi:[1,0,1] neg_lo:[0,0,1] neg_hi:[0,0,1]
	;; [unrolled: 1-line block ×3, first 2 shown]
	ds_read2_b64 v[88:91], v245 offset0:128 offset1:224
	s_waitcnt vmcnt(0) lgkmcnt(0)
	v_pk_mul_f32 v[6:7], v[90:91], v[202:203] op_sel:[0,1]
	s_nop 0
	v_pk_fma_f32 v[82:83], v[90:91], v[202:203], v[6:7] op_sel:[0,0,1] op_sel_hi:[1,1,0] neg_lo:[0,0,1] neg_hi:[0,0,1]
	v_pk_fma_f32 v[6:7], v[90:91], v[202:203], v[6:7] op_sel:[0,0,1] op_sel_hi:[1,0,0]
	v_pk_mul_f32 v[90:91], v[88:89], v[208:209] op_sel:[0,1]
	v_mov_b32_e32 v83, v7
	v_pk_add_f32 v[6:7], v[80:81], v[82:83] neg_lo:[0,1] neg_hi:[0,1]
	ds_read2_b64 v[82:85], v189 offset0:128 offset1:224
	v_pk_fma_f32 v[96:97], v[88:89], v[208:209], v[90:91] op_sel:[0,0,1] op_sel_hi:[1,1,0] neg_lo:[0,0,1] neg_hi:[0,0,1]
	v_pk_fma_f32 v[88:89], v[88:89], v[208:209], v[90:91] op_sel:[0,0,1] op_sel_hi:[1,0,0]
	s_nop 0
	v_mov_b32_e32 v97, v89
	v_pk_mul_f32 v[88:89], v[122:123], v[212:213] op_sel:[0,1]
	s_waitcnt lgkmcnt(0)
	v_pk_add_f32 v[96:97], v[84:85], v[96:97] neg_lo:[0,1] neg_hi:[0,1]
	v_pk_fma_f32 v[90:91], v[122:123], v[212:213], v[88:89] op_sel:[0,0,1] op_sel_hi:[1,1,0] neg_lo:[0,0,1] neg_hi:[0,0,1]
	v_pk_fma_f32 v[88:89], v[122:123], v[212:213], v[88:89] op_sel:[0,0,1] op_sel_hi:[1,0,0]
	v_pk_fma_f32 v[122:123], v[120:121], v[214:215], v[116:117] op_sel:[0,0,1] op_sel_hi:[1,1,0] neg_lo:[0,0,1] neg_hi:[0,0,1]
	v_mov_b32_e32 v91, v89
	v_pk_add_f32 v[106:107], v[82:83], v[90:91] neg_lo:[0,1] neg_hi:[0,1]
	ds_read2_b64 v[88:91], v196 offset0:64 offset1:160
	v_pk_fma_f32 v[116:117], v[120:121], v[214:215], v[116:117] op_sel:[0,0,1] op_sel_hi:[1,0,0]
	s_nop 0
	v_mov_b32_e32 v123, v117
	s_waitcnt lgkmcnt(0)
	v_pk_add_f32 v[116:117], v[90:91], v[122:123] neg_lo:[0,1] neg_hi:[0,1]
	ds_read2_b64 v[120:123], v247 offset1:96
	s_waitcnt lgkmcnt(0)
	v_pk_mul_f32 v[124:125], v[122:123], v[216:217] op_sel:[0,1]
	s_nop 0
	v_pk_fma_f32 v[126:127], v[122:123], v[216:217], v[124:125] op_sel:[0,0,1] op_sel_hi:[1,1,0] neg_lo:[0,0,1] neg_hi:[0,0,1]
	v_pk_fma_f32 v[122:123], v[122:123], v[216:217], v[124:125] op_sel:[0,0,1] op_sel_hi:[1,0,0]
	s_nop 0
	v_mov_b32_e32 v127, v123
	ds_read2_b64 v[122:125], v201 offset1:96
	v_pk_add_f32 v[132:133], v[88:89], v[126:127] neg_lo:[0,1] neg_hi:[0,1]
	v_pk_mul_f32 v[126:127], v[120:121], v[220:221] op_sel:[0,1]
	s_nop 0
	v_pk_fma_f32 v[128:129], v[120:121], v[220:221], v[126:127] op_sel:[0,0,1] op_sel_hi:[1,1,0] neg_lo:[0,0,1] neg_hi:[0,0,1]
	v_pk_fma_f32 v[120:121], v[120:121], v[220:221], v[126:127] op_sel:[0,0,1] op_sel_hi:[1,0,0]
	s_nop 0
	v_mov_b32_e32 v129, v121
	s_waitcnt lgkmcnt(0)
	v_pk_add_f32 v[120:121], v[124:125], v[128:129] neg_lo:[0,1] neg_hi:[0,1]
	ds_read2_b64 v[126:129], v195 offset0:64 offset1:160
	s_waitcnt lgkmcnt(0)
	s_barrier
	ds_write_b64 v240, v[8:9] offset:5760
	ds_write2_b64 v240, v[94:95], v[100:101] offset1:96
	ds_write2_b64 v201, v[98:99], v[110:111] offset0:48 offset1:144
	ds_write2_b64 v243, v[104:105], v[130:131] offset0:64 offset1:160
	;; [unrolled: 1-line block ×3, first 2 shown]
	v_pk_mul_f32 v[134:135], v[128:129], v[226:227] op_sel:[0,1]
	ds_write2_b64 v242, v[112:113], v[114:115] offset0:128 offset1:224
	ds_write_b64 v240, v[108:109] offset:4608
	ds_write2_b64 v197, v[2:3], v[0:1] offset0:48 offset1:144
	v_pk_fma_f32 v[136:137], v[128:129], v[226:227], v[134:135] op_sel:[0,0,1] op_sel_hi:[1,1,0] neg_lo:[0,0,1] neg_hi:[0,0,1]
	v_pk_fma_f32 v[128:129], v[128:129], v[226:227], v[134:135] op_sel:[0,0,1] op_sel_hi:[1,0,0]
	v_pk_mul_f32 v[134:135], v[126:127], v[228:229] op_sel:[0,1]
	v_mov_b32_e32 v137, v129
	v_pk_add_f32 v[128:129], v[122:123], v[136:137] neg_lo:[0,1] neg_hi:[0,1]
	v_pk_fma_f32 v[136:137], v[126:127], v[228:229], v[134:135] op_sel:[0,0,1] op_sel_hi:[1,1,0] neg_lo:[0,0,1] neg_hi:[0,0,1]
	v_pk_fma_f32 v[126:127], v[126:127], v[228:229], v[134:135] op_sel:[0,0,1] op_sel_hi:[1,0,0]
	v_pk_fma_f32 v[0:1], v[122:123], 2.0, v[128:129] op_sel_hi:[1,0,1] neg_lo:[0,0,1] neg_hi:[0,0,1]
	v_mov_b32_e32 v137, v127
	v_pk_add_f32 v[126:127], v[86:87], v[136:137] neg_lo:[0,1] neg_hi:[0,1]
	v_pk_fma_f32 v[2:3], v[124:125], 2.0, v[120:121] op_sel_hi:[1,0,1] neg_lo:[0,0,1] neg_hi:[0,0,1]
	v_pk_fma_f32 v[86:87], v[86:87], 2.0, v[126:127] op_sel_hi:[1,0,1] neg_lo:[0,0,1] neg_hi:[0,0,1]
	v_add_u32_e32 v4, 0x2c00, v240
	ds_write_b64 v15, v[86:87]
	ds_write_b64 v15, v[126:127] offset:5760
	ds_write2_b64 v4, v[0:1], v[2:3] offset0:80 offset1:176
	v_pk_fma_f32 v[0:1], v[88:89], 2.0, v[132:133] op_sel_hi:[1,0,1] neg_lo:[0,0,1] neg_hi:[0,0,1]
	v_pk_fma_f32 v[2:3], v[90:91], 2.0, v[116:117] op_sel_hi:[1,0,1] neg_lo:[0,0,1] neg_hi:[0,0,1]
	ds_write2_b64 v191, v[0:1], v[2:3] offset0:144 offset1:240
	v_pk_fma_f32 v[0:1], v[82:83], 2.0, v[106:107] op_sel_hi:[1,0,1] neg_lo:[0,0,1] neg_hi:[0,0,1]
	v_pk_fma_f32 v[2:3], v[84:85], 2.0, v[96:97] op_sel_hi:[1,0,1] neg_lo:[0,0,1] neg_hi:[0,0,1]
	ds_write2_b64 v244, v[0:1], v[2:3] offset0:80 offset1:176
	v_pk_fma_f32 v[0:1], v[80:81], 2.0, v[6:7] op_sel_hi:[1,0,1] neg_lo:[0,0,1] neg_hi:[0,0,1]
	ds_write2_b64 v247, v[120:121], v[132:133] offset1:96
	ds_write2_b64 v246, v[116:117], v[106:107] offset0:64 offset1:160
	ds_write2_b64 v195, v[0:1], v[128:129] offset0:16 offset1:160
	;; [unrolled: 1-line block ×3, first 2 shown]
	s_waitcnt lgkmcnt(0)
	s_barrier
	global_load_dwordx2 v[162:163], v[92:93], off offset:3248
	global_load_dwordx2 v[164:165], v[92:93], off offset:4016
	v_add_co_u32_e32 v0, vcc, s19, v102
	v_mov_b32_e32 v15, v195
	s_nop 0
	v_addc_co_u32_e32 v1, vcc, 0, v103, vcc
	global_load_dwordx2 v[166:167], v[0:1], off offset:688
	global_load_dwordx2 v[168:169], v[0:1], off offset:1456
	global_load_dwordx2 v[170:171], v[0:1], off offset:2224
	global_load_dwordx2 v[172:173], v[0:1], off offset:2992
	global_load_dwordx2 v[174:175], v[0:1], off offset:3760
	v_add_co_u32_e32 v0, vcc, s13, v102
	v_mov_b32_e32 v31, v4
	s_nop 0
	v_addc_co_u32_e32 v1, vcc, 0, v103, vcc
	global_load_dwordx2 v[178:179], v[0:1], off offset:432
	global_load_dwordx2 v[252:253], v[0:1], off offset:1200
	global_load_dwordx2 v[118:119], v[0:1], off offset:1968
	;; [unrolled: 9-line block ×3, first 2 shown]
	ds_read2_b64 v[0:3], v240 offset1:96
	ds_read2_b64 v[80:83], v254 offset0:64 offset1:160
	ds_read2_b64 v[98:101], v255 offset0:64 offset1:160
	s_waitcnt vmcnt(14) lgkmcnt(1)
	v_pk_mul_f32 v[4:5], v[82:83], v[162:163] op_sel:[0,1]
	s_nop 0
	v_pk_fma_f32 v[6:7], v[82:83], v[162:163], v[4:5] op_sel:[0,0,1] op_sel_hi:[1,1,0] neg_lo:[0,0,1] neg_hi:[0,0,1]
	v_pk_fma_f32 v[4:5], v[82:83], v[162:163], v[4:5] op_sel:[0,0,1] op_sel_hi:[1,0,0]
	s_waitcnt vmcnt(5)
	v_accvgpr_write_b32 a169, v119
	v_mov_b32_e32 v7, v5
	v_pk_add_f32 v[82:83], v[0:1], v[6:7] neg_lo:[0,1] neg_hi:[0,1]
	ds_read2_b64 v[4:7], v185 offset1:96
	v_pk_fma_f32 v[8:9], v[0:1], 2.0, v[82:83] op_sel_hi:[1,0,1] neg_lo:[0,0,1] neg_hi:[0,0,1]
	v_accvgpr_write_b32 a168, v118
	s_waitcnt lgkmcnt(0)
	v_pk_mul_f32 v[0:1], v[4:5], v[164:165] op_sel:[0,1]
	s_nop 0
	v_pk_fma_f32 v[84:85], v[4:5], v[164:165], v[0:1] op_sel:[0,0,1] op_sel_hi:[1,1,0] neg_lo:[0,0,1] neg_hi:[0,0,1]
	v_pk_fma_f32 v[0:1], v[4:5], v[164:165], v[0:1] op_sel:[0,0,1] op_sel_hi:[1,0,0]
	s_nop 0
	v_mov_b32_e32 v85, v1
	v_pk_add_f32 v[0:1], v[2:3], v[84:85] neg_lo:[0,1] neg_hi:[0,1]
	ds_read2_b64 v[84:87], v243 offset0:64 offset1:160
	v_pk_fma_f32 v[90:91], v[2:3], 2.0, v[0:1] op_sel_hi:[1,0,1] neg_lo:[0,0,1] neg_hi:[0,0,1]
	v_pk_mul_f32 v[2:3], v[6:7], v[166:167] op_sel:[0,1]
	s_nop 0
	v_pk_fma_f32 v[4:5], v[6:7], v[166:167], v[2:3] op_sel:[0,0,1] op_sel_hi:[1,1,0] neg_lo:[0,0,1] neg_hi:[0,0,1]
	v_pk_fma_f32 v[2:3], v[6:7], v[166:167], v[2:3] op_sel:[0,0,1] op_sel_hi:[1,0,0]
	s_nop 0
	v_mov_b32_e32 v5, v3
	s_waitcnt lgkmcnt(0)
	v_pk_add_f32 v[2:3], v[84:85], v[4:5] neg_lo:[0,1] neg_hi:[0,1]
	ds_read2_b64 v[4:7], v63 offset0:64 offset1:160
	v_pk_fma_f32 v[96:97], v[84:85], 2.0, v[2:3] op_sel_hi:[1,0,1] neg_lo:[0,0,1] neg_hi:[0,0,1]
	s_waitcnt lgkmcnt(0)
	v_pk_mul_f32 v[84:85], v[4:5], v[168:169] op_sel:[0,1]
	s_nop 0
	v_pk_fma_f32 v[88:89], v[4:5], v[168:169], v[84:85] op_sel:[0,0,1] op_sel_hi:[1,1,0] neg_lo:[0,0,1] neg_hi:[0,0,1]
	v_pk_fma_f32 v[4:5], v[4:5], v[168:169], v[84:85] op_sel:[0,0,1] op_sel_hi:[1,0,0]
	s_nop 0
	v_mov_b32_e32 v89, v5
	v_pk_add_f32 v[4:5], v[86:87], v[88:89] neg_lo:[0,1] neg_hi:[0,1]
	v_pk_mul_f32 v[88:89], v[6:7], v[170:171] op_sel:[0,1]
	v_pk_fma_f32 v[102:103], v[86:87], 2.0, v[4:5] op_sel_hi:[1,0,1] neg_lo:[0,0,1] neg_hi:[0,0,1]
	ds_read2_b64 v[84:87], v242 offset0:128 offset1:224
	v_pk_fma_f32 v[92:93], v[6:7], v[170:171], v[88:89] op_sel:[0,0,1] op_sel_hi:[1,1,0] neg_lo:[0,0,1] neg_hi:[0,0,1]
	v_pk_fma_f32 v[6:7], v[6:7], v[170:171], v[88:89] op_sel:[0,0,1] op_sel_hi:[1,0,0]
	s_nop 0
	v_mov_b32_e32 v93, v7
	s_waitcnt lgkmcnt(0)
	v_pk_add_f32 v[6:7], v[84:85], v[92:93] neg_lo:[0,1] neg_hi:[0,1]
	ds_read2_b64 v[92:95], v244 offset0:128 offset1:224
	v_pk_fma_f32 v[104:105], v[84:85], 2.0, v[6:7] op_sel_hi:[1,0,1] neg_lo:[0,0,1] neg_hi:[0,0,1]
	s_waitcnt lgkmcnt(0)
	v_pk_mul_f32 v[84:85], v[92:93], v[172:173] op_sel:[0,1]
	s_nop 0
	v_pk_fma_f32 v[88:89], v[92:93], v[172:173], v[84:85] op_sel:[0,0,1] op_sel_hi:[1,1,0] neg_lo:[0,0,1] neg_hi:[0,0,1]
	v_pk_fma_f32 v[84:85], v[92:93], v[172:173], v[84:85] op_sel:[0,0,1] op_sel_hi:[1,0,0]
	s_nop 0
	v_mov_b32_e32 v89, v85
	v_pk_add_f32 v[84:85], v[86:87], v[88:89] neg_lo:[0,1] neg_hi:[0,1]
	s_nop 0
	v_pk_fma_f32 v[106:107], v[86:87], 2.0, v[84:85] op_sel_hi:[1,0,1] neg_lo:[0,0,1] neg_hi:[0,0,1]
	v_pk_mul_f32 v[86:87], v[94:95], v[174:175] op_sel:[0,1]
	s_nop 0
	v_pk_fma_f32 v[88:89], v[94:95], v[174:175], v[86:87] op_sel:[0,0,1] op_sel_hi:[1,1,0] neg_lo:[0,0,1] neg_hi:[0,0,1]
	v_pk_fma_f32 v[86:87], v[94:95], v[174:175], v[86:87] op_sel:[0,0,1] op_sel_hi:[1,0,0]
	ds_read2_b64 v[92:95], v15 offset0:64 offset1:160
	v_mov_b32_e32 v89, v87
	v_pk_add_f32 v[86:87], v[98:99], v[88:89] neg_lo:[0,1] neg_hi:[0,1]
	v_add_u32_e32 v15, 0x4400, v240
	v_pk_fma_f32 v[108:109], v[98:99], 2.0, v[86:87] op_sel_hi:[1,0,1] neg_lo:[0,0,1] neg_hi:[0,0,1]
	s_waitcnt lgkmcnt(0)
	v_pk_mul_f32 v[88:89], v[92:93], v[178:179] op_sel:[0,1]
	s_nop 0
	v_pk_fma_f32 v[98:99], v[92:93], v[178:179], v[88:89] op_sel:[0,0,1] op_sel_hi:[1,1,0] neg_lo:[0,0,1] neg_hi:[0,0,1]
	v_pk_fma_f32 v[88:89], v[92:93], v[178:179], v[88:89] op_sel:[0,0,1] op_sel_hi:[1,0,0]
	s_nop 0
	v_mov_b32_e32 v99, v89
	v_pk_add_f32 v[110:111], v[100:101], v[98:99] neg_lo:[0,1] neg_hi:[0,1]
	v_pk_mul_f32 v[88:89], v[94:95], v[252:253] op_sel:[0,1]
	v_pk_fma_f32 v[112:113], v[100:101], 2.0, v[110:111] op_sel_hi:[1,0,1] neg_lo:[0,0,1] neg_hi:[0,0,1]
	ds_read2_b64 v[98:101], v201 offset1:96
	v_pk_fma_f32 v[92:93], v[94:95], v[252:253], v[88:89] op_sel:[0,0,1] op_sel_hi:[1,1,0] neg_lo:[0,0,1] neg_hi:[0,0,1]
	v_pk_fma_f32 v[88:89], v[94:95], v[252:253], v[88:89] op_sel:[0,0,1] op_sel_hi:[1,0,0]
	s_nop 0
	v_mov_b32_e32 v93, v89
	s_waitcnt lgkmcnt(0)
	v_pk_add_f32 v[88:89], v[98:99], v[92:93] neg_lo:[0,1] neg_hi:[0,1]
	ds_read2_b64 v[92:95], v247 offset1:96
	v_pk_fma_f32 v[114:115], v[98:99], 2.0, v[88:89] op_sel_hi:[1,0,1] neg_lo:[0,0,1] neg_hi:[0,0,1]
	s_waitcnt lgkmcnt(0)
	v_pk_mul_f32 v[98:99], v[92:93], v[118:119] op_sel:[0,1]
	s_nop 0
	v_pk_fma_f32 v[116:117], v[92:93], v[118:119], v[98:99] op_sel:[0,0,1] op_sel_hi:[1,1,0] neg_lo:[0,0,1] neg_hi:[0,0,1]
	v_pk_fma_f32 v[92:93], v[92:93], v[118:119], v[98:99] op_sel:[0,0,1] op_sel_hi:[1,0,0]
	s_waitcnt vmcnt(4)
	v_pk_mul_f32 v[118:119], v[94:95], v[190:191] op_sel:[0,1]
	v_mov_b32_e32 v117, v93
	v_pk_add_f32 v[92:93], v[100:101], v[116:117] neg_lo:[0,1] neg_hi:[0,1]
	v_pk_fma_f32 v[120:121], v[94:95], v[190:191], v[118:119] op_sel:[0,0,1] op_sel_hi:[1,1,0] neg_lo:[0,0,1] neg_hi:[0,0,1]
	v_pk_fma_f32 v[116:117], v[100:101], 2.0, v[92:93] op_sel_hi:[1,0,1] neg_lo:[0,0,1] neg_hi:[0,0,1]
	ds_read2_b64 v[98:101], v19 offset0:64 offset1:160
	ds_write2_b64 v240, v[8:9], v[90:91] offset1:96
	ds_write2_b64 v243, v[96:97], v[102:103] offset0:64 offset1:160
	ds_write2_b64 v242, v[104:105], v[106:107] offset0:128 offset1:224
	;; [unrolled: 1-line block ×3, first 2 shown]
	ds_write2_b64 v201, v[114:115], v[116:117] offset1:96
	ds_read2_b64 v[102:105], v246 offset0:64 offset1:160
	ds_write_b64 v240, v[110:111] offset:16896
	v_pk_fma_f32 v[94:95], v[94:95], v[190:191], v[118:119] op_sel:[0,0,1] op_sel_hi:[1,0,0]
	ds_write2_b64 v185, v[0:1], v[2:3] offset1:96
	v_mov_b32_e32 v121, v95
	s_waitcnt vmcnt(3) lgkmcnt(2)
	v_pk_mul_f32 v[8:9], v[102:103], v[192:193] op_sel:[0,1]
	s_waitcnt vmcnt(2)
	v_pk_mul_f32 v[96:97], v[104:105], v[194:195] op_sel:[0,1]
	v_pk_fma_f32 v[90:91], v[102:103], v[192:193], v[8:9] op_sel:[0,0,1] op_sel_hi:[1,1,0] neg_lo:[0,0,1] neg_hi:[0,0,1]
	v_pk_fma_f32 v[8:9], v[102:103], v[192:193], v[8:9] op_sel:[0,0,1] op_sel_hi:[1,0,0]
	v_pk_fma_f32 v[106:107], v[104:105], v[194:195], v[96:97] op_sel:[0,0,1] op_sel_hi:[1,1,0] neg_lo:[0,0,1] neg_hi:[0,0,1]
	v_mov_b32_e32 v91, v9
	v_pk_add_f32 v[8:9], v[100:101], v[90:91] neg_lo:[0,1] neg_hi:[0,1]
	v_pk_fma_f32 v[96:97], v[104:105], v[194:195], v[96:97] op_sel:[0,0,1] op_sel_hi:[1,0,0]
	v_pk_fma_f32 v[90:91], v[100:101], 2.0, v[8:9] op_sel_hi:[1,0,1] neg_lo:[0,0,1] neg_hi:[0,0,1]
	ds_read2_b64 v[100:103], v189 offset0:128 offset1:224
	v_mov_b32_e32 v107, v97
	v_pk_add_f32 v[94:95], v[98:99], v[120:121] neg_lo:[0,1] neg_hi:[0,1]
	v_lshl_add_u64 v[0:1], s[16:17], 0, v[240:241]
	v_pk_fma_f32 v[98:99], v[98:99], 2.0, v[94:95] op_sel_hi:[1,0,1] neg_lo:[0,0,1] neg_hi:[0,0,1]
	s_waitcnt lgkmcnt(0)
	v_pk_add_f32 v[96:97], v[100:101], v[106:107] neg_lo:[0,1] neg_hi:[0,1]
	ds_read2_b64 v[104:107], v245 offset0:128 offset1:224
	v_pk_fma_f32 v[100:101], v[100:101], 2.0, v[96:97] op_sel_hi:[1,0,1] neg_lo:[0,0,1] neg_hi:[0,0,1]
	ds_write2_b64 v63, v[4:5], v[6:7] offset0:64 offset1:160
	ds_write2_b64 v244, v[84:85], v[86:87] offset0:128 offset1:224
	v_mov_b32_e32 v246, v63
	s_waitcnt vmcnt(1) lgkmcnt(2)
	v_pk_mul_f32 v[108:109], v[104:105], v[196:197] op_sel:[0,1]
	v_mov_b32_e32 v241, v242
	v_pk_fma_f32 v[110:111], v[104:105], v[196:197], v[108:109] op_sel:[0,0,1] op_sel_hi:[1,1,0] neg_lo:[0,0,1] neg_hi:[0,0,1]
	v_pk_fma_f32 v[104:105], v[104:105], v[196:197], v[108:109] op_sel:[0,0,1] op_sel_hi:[1,0,0]
	s_waitcnt vmcnt(0)
	v_pk_mul_f32 v[108:109], v[106:107], v[198:199] op_sel:[0,1]
	v_mov_b32_e32 v111, v105
	v_pk_add_f32 v[104:105], v[102:103], v[110:111] neg_lo:[0,1] neg_hi:[0,1]
	v_pk_fma_f32 v[110:111], v[106:107], v[198:199], v[108:109] op_sel:[0,0,1] op_sel_hi:[1,1,0] neg_lo:[0,0,1] neg_hi:[0,0,1]
	v_pk_fma_f32 v[106:107], v[106:107], v[198:199], v[108:109] op_sel:[0,0,1] op_sel_hi:[1,0,0]
	v_pk_fma_f32 v[102:103], v[102:103], 2.0, v[104:105] op_sel_hi:[1,0,1] neg_lo:[0,0,1] neg_hi:[0,0,1]
	v_mov_b32_e32 v111, v107
	v_pk_add_f32 v[106:107], v[80:81], v[110:111] neg_lo:[0,1] neg_hi:[0,1]
	s_nop 0
	v_pk_fma_f32 v[80:81], v[80:81], 2.0, v[106:107] op_sel_hi:[1,0,1] neg_lo:[0,0,1] neg_hi:[0,0,1]
	ds_write2_b64 v15, v[88:89], v[92:93] offset0:32 offset1:128
	ds_write2_b64 v19, v[98:99], v[90:91] offset0:64 offset1:160
	;; [unrolled: 1-line block ×3, first 2 shown]
	ds_write_b64 v240, v[96:97] offset:20736
	ds_write2_b64 v189, v[100:101], v[102:103] offset0:128 offset1:224
	ds_write2_b64 v254, v[80:81], v[82:83] offset0:64 offset1:160
	;; [unrolled: 1-line block ×3, first 2 shown]
	s_waitcnt lgkmcnt(0)
	s_barrier
	global_load_dwordx2 v[2:3], v240, s[16:17]
	ds_read2_b64 v[80:83], v240 offset1:96
	s_waitcnt vmcnt(0) lgkmcnt(0)
	v_mul_f32_e32 v4, v81, v3
	v_mul_f32_e32 v5, v80, v3
	v_fma_f32 v4, v80, v2, -v4
	v_fmac_f32_e32 v5, v81, v2
	global_load_dwordx2 v[2:3], v240, s[16:17] offset:2304
	ds_write_b64 v240, v[4:5]
	ds_read2_b64 v[90:93], v243 offset0:64 offset1:160
	ds_read2_b64 v[96:99], v255 offset0:64 offset1:160
	;; [unrolled: 1-line block ×6, first 2 shown]
	v_mov_b32_e32 v63, v39
	s_waitcnt vmcnt(0) lgkmcnt(5)
	v_mul_f32_e32 v4, v93, v3
	v_mul_f32_e32 v5, v92, v3
	v_fma_f32 v4, v92, v2, -v4
	v_fmac_f32_e32 v5, v93, v2
	v_add_co_u32_e32 v2, vcc, s11, v0
	ds_read2_b64 v[92:95], v201 offset1:96
	s_nop 0
	v_addc_co_u32_e32 v3, vcc, 0, v1, vcc
	global_load_dwordx2 v[6:7], v[2:3], off offset:512
	v_add_co_u32_e32 v122, vcc, s18, v0
	s_mov_b32 s18, 0xbe9e377a
	s_nop 0
	v_addc_co_u32_e32 v123, vcc, 0, v1, vcc
	v_add_co_u32_e32 v126, vcc, s19, v0
	s_mov_b32 s19, s12
	s_nop 0
	v_addc_co_u32_e32 v127, vcc, 0, v1, vcc
	global_load_dwordx2 v[88:89], v[126:127], off offset:3840
	v_add_co_u32_e32 v114, vcc, s20, v0
	s_mov_b32 s20, s10
	s_nop 0
	v_addc_co_u32_e32 v115, vcc, 0, v1, vcc
	v_add_co_u32_e32 v0, vcc, s13, v0
	s_waitcnt vmcnt(1) lgkmcnt(5)
	v_mul_f32_e32 v8, v97, v7
	v_fma_f32 v120, v96, v6, -v8
	global_load_dwordx2 v[8:9], v[2:3], off offset:2816
	v_mul_f32_e32 v121, v96, v7
	v_fmac_f32_e32 v121, v97, v6
	v_addc_co_u32_e32 v1, vcc, 0, v1, vcc
	s_waitcnt vmcnt(0) lgkmcnt(0)
	v_mul_f32_e32 v6, v95, v9
	v_mul_f32_e32 v7, v94, v9
	v_fma_f32 v6, v94, v8, -v6
	v_fmac_f32_e32 v7, v95, v8
	v_accvgpr_read_b32 v8, a107
	global_load_dwordx2 v[8:9], v8, s[16:17]
	ds_read2_b64 v[94:97], v254 offset0:64 offset1:160
	v_accvgpr_write_b32 a107, v35
	s_waitcnt vmcnt(0)
	v_mul_f32_e32 v19, v101, v9
	v_mul_f32_e32 v119, v100, v9
	v_fma_f32 v118, v100, v8, -v19
	v_fmac_f32_e32 v119, v101, v8
	global_load_dwordx2 v[8:9], v[122:123], off offset:3328
	s_waitcnt vmcnt(0) lgkmcnt(0)
	v_mul_f32_e32 v19, v97, v9
	v_mul_f32_e32 v81, v96, v9
	v_fma_f32 v80, v96, v8, -v19
	v_fmac_f32_e32 v81, v97, v8
	global_load_dwordx2 v[8:9], v[126:127], off offset:1536
	global_load_dwordx2 v[96:97], v[114:115], off offset:256
	s_waitcnt vmcnt(1)
	v_mul_f32_e32 v19, v107, v9
	v_mul_f32_e32 v125, v106, v9
	v_fma_f32 v124, v106, v8, -v19
	v_fmac_f32_e32 v125, v107, v8
	v_mul_f32_e32 v8, v87, v89
	v_mul_f32_e32 v9, v86, v89
	v_accvgpr_read_b32 v19, a113
	v_fma_f32 v8, v86, v88, -v8
	v_fmac_f32_e32 v9, v87, v88
	global_load_dwordx2 v[86:87], v19, s[16:17]
	ds_read2_b64 v[104:107], v247 offset1:96
	v_accvgpr_write_b32 a113, v59
	s_waitcnt vmcnt(0) lgkmcnt(0)
	v_mul_f32_e32 v19, v105, v87
	v_mul_f32_e32 v117, v104, v87
	v_fma_f32 v116, v104, v86, -v19
	v_fmac_f32_e32 v117, v105, v86
	ds_read2_b64 v[86:89], v27 offset0:64 offset1:160
	s_waitcnt lgkmcnt(0)
	v_mul_f32_e32 v19, v89, v97
	v_mul_f32_e32 v129, v88, v97
	v_fma_f32 v128, v88, v96, -v19
	v_fmac_f32_e32 v129, v89, v96
	global_load_dwordx2 v[88:89], v240, s[16:17] offset:768
	s_waitcnt vmcnt(0)
	v_mul_f32_e32 v19, v83, v89
	v_mul_f32_e32 v131, v82, v89
	v_fma_f32 v130, v82, v88, -v19
	v_fmac_f32_e32 v131, v83, v88
	global_load_dwordx2 v[82:83], v240, s[16:17] offset:3072
	s_waitcnt vmcnt(0)
	v_mul_f32_e32 v19, v111, v83
	v_mul_f32_e32 v89, v110, v83
	v_fma_f32 v88, v110, v82, -v19
	v_fmac_f32_e32 v89, v111, v82
	ds_write2_b64 v242, v[4:5], v[88:89] offset0:32 offset1:128
	global_load_dwordx2 v[4:5], v[2:3], off offset:1280
	s_waitcnt vmcnt(0)
	v_mul_f32_e32 v19, v99, v5
	global_load_dwordx2 v[2:3], v[2:3], off offset:3584
	v_mul_f32_e32 v89, v98, v5
	v_fma_f32 v88, v98, v4, -v19
	v_fmac_f32_e32 v89, v99, v4
	ds_read2_b64 v[98:101], v39 offset0:64 offset1:160
	s_waitcnt vmcnt(0) lgkmcnt(0)
	v_mul_f32_e32 v4, v99, v3
	v_mul_f32_e32 v5, v98, v3
	v_fma_f32 v4, v98, v2, -v4
	v_fmac_f32_e32 v5, v99, v2
	global_load_dwordx2 v[2:3], v[122:123], off offset:1792
	ds_write2_b64 v201, v[6:7], v[4:5] offset0:96 offset1:192
	ds_read2_b64 v[96:99], v43 offset0:64 offset1:160
	s_waitcnt vmcnt(0)
	v_mul_f32_e32 v4, v103, v3
	v_mul_f32_e32 v7, v102, v3
	v_fma_f32 v6, v102, v2, -v4
	v_fmac_f32_e32 v7, v103, v2
	v_accvgpr_read_b32 v2, a109
	global_load_dwordx2 v[2:3], v2, s[16:17]
	ds_read2_b64 v[102:105], v185 offset1:96
	v_accvgpr_write_b32 a109, v31
	s_waitcnt vmcnt(0) lgkmcnt(0)
	v_mul_f32_e32 v4, v103, v3
	v_mul_f32_e32 v5, v102, v3
	v_fma_f32 v4, v102, v2, -v4
	v_fmac_f32_e32 v5, v103, v2
	ds_write2_b64 v31, v[80:81], v[4:5] offset0:32 offset1:128
	global_load_dwordx2 v[4:5], v[126:127], off offset:2304
	v_mov_b32_e32 v31, v43
	s_waitcnt vmcnt(0)
	v_mul_f32_e32 v2, v109, v5
	v_mul_f32_e32 v3, v108, v5
	v_fma_f32 v2, v108, v4, -v2
	v_fmac_f32_e32 v3, v109, v4
	global_load_dwordx2 v[4:5], v[0:1], off offset:512
	s_waitcnt vmcnt(0)
	v_mul_f32_e32 v19, v97, v5
	v_mul_f32_e32 v81, v96, v5
	v_fma_f32 v80, v96, v4, -v19
	v_fmac_f32_e32 v81, v97, v4
	v_add_u32_e32 v4, 0x3c00, v240
	ds_write2_b64 v4, v[8:9], v[80:81] offset0:96 offset1:192
	global_load_dwordx2 v[8:9], v[0:1], off offset:2816
	ds_read2_b64 v[80:83], v245 offset0:128 offset1:224
	s_waitcnt vmcnt(0)
	v_mul_f32_e32 v4, v107, v9
	v_mul_f32_e32 v5, v106, v9
	v_fma_f32 v4, v106, v8, -v4
	v_fmac_f32_e32 v5, v107, v8
	v_accvgpr_read_b32 v8, a111
	global_load_dwordx2 v[8:9], v8, s[16:17]
	v_accvgpr_write_b32 a111, v23
	s_waitcnt vmcnt(0) lgkmcnt(0)
	v_mul_f32_e32 v19, v81, v9
	v_mul_f32_e32 v97, v80, v9
	v_fma_f32 v96, v80, v8, -v19
	v_fmac_f32_e32 v97, v81, v8
	global_load_dwordx2 v[8:9], v240, s[16:17] offset:1536
	ds_write2_b64 v245, v[128:129], v[96:97] offset0:32 offset1:128
	s_waitcnt vmcnt(0)
	v_mul_f32_e32 v19, v91, v9
	v_mul_f32_e32 v81, v90, v9
	v_fma_f32 v80, v90, v8, -v19
	v_fmac_f32_e32 v81, v91, v8
	global_load_dwordx2 v[8:9], v240, s[16:17] offset:3840
	ds_write2_b64 v240, v[130:131], v[80:81] offset0:96 offset1:192
	s_waitcnt vmcnt(0)
	v_mul_f32_e32 v19, v113, v9
	v_mul_f32_e32 v81, v112, v9
	v_fma_f32 v80, v112, v8, -v19
	v_fmac_f32_e32 v81, v113, v8
	v_accvgpr_read_b32 v8, a115
	global_load_dwordx2 v[8:9], v8, s[16:17]
	ds_write2_b64 v59, v[80:81], v[120:121] offset0:96 offset1:192
	v_accvgpr_write_b32 a115, v255
	v_mov_b32_e32 v59, v31
	s_waitcnt vmcnt(0)
	v_mul_f32_e32 v19, v93, v9
	v_mul_f32_e32 v81, v92, v9
	v_fma_f32 v80, v92, v8, -v19
	v_fmac_f32_e32 v81, v93, v8
	global_load_dwordx2 v[8:9], v[122:123], off offset:256
	ds_write2_b64 v23, v[88:89], v[80:81] offset0:32 offset1:128
	s_waitcnt vmcnt(0)
	v_mul_f32_e32 v19, v101, v9
	v_mul_f32_e32 v81, v100, v9
	v_fma_f32 v80, v100, v8, -v19
	v_fmac_f32_e32 v81, v101, v8
	global_load_dwordx2 v[8:9], v[122:123], off offset:2560
	ds_write2_b64 v189, v[80:81], v[118:119] offset0:32 offset1:128
	s_waitcnt vmcnt(0)
	v_mul_f32_e32 v19, v95, v9
	v_mul_f32_e32 v81, v94, v9
	v_fma_f32 v80, v94, v8, -v19
	v_fmac_f32_e32 v81, v95, v8
	ds_write2_b64 v35, v[6:7], v[80:81] offset0:96 offset1:192
	global_load_dwordx2 v[6:7], v[126:127], off offset:768
	v_mov_b32_e32 v35, v246
	v_mov_b32_e32 v75, v35
	s_waitcnt vmcnt(0)
	v_mul_f32_e32 v8, v105, v7
	v_mul_f32_e32 v9, v104, v7
	v_fma_f32 v8, v104, v6, -v8
	v_fmac_f32_e32 v9, v105, v6
	v_accvgpr_read_b32 v6, a139
	global_load_dwordx2 v[6:7], v6, s[16:17]
	ds_write2_b64 v185, v[8:9], v[124:125] offset0:96 offset1:192
	s_mov_b32 s16, 0xbf4f1bbd
	s_mov_b32 s17, s8
	s_waitcnt vmcnt(0)
	v_mul_f32_e32 v8, v85, v7
	v_mul_f32_e32 v9, v84, v7
	v_fma_f32 v8, v84, v6, -v8
	v_fmac_f32_e32 v9, v85, v6
	ds_write2_b64 v244, v[2:3], v[8:9] offset0:32 offset1:128
	global_load_dwordx2 v[2:3], v[0:1], off offset:1280
	s_waitcnt vmcnt(0)
	v_mul_f32_e32 v6, v99, v3
	global_load_dwordx2 v[0:1], v[0:1], off offset:3584
	v_mul_f32_e32 v7, v98, v3
	v_fma_f32 v6, v98, v2, -v6
	v_fmac_f32_e32 v7, v99, v2
	ds_write2_b64 v15, v[6:7], v[116:117] offset0:32 offset1:128
	s_waitcnt vmcnt(0)
	v_mul_f32_e32 v2, v87, v1
	v_mul_f32_e32 v3, v86, v1
	v_fma_f32 v2, v86, v0, -v2
	v_fmac_f32_e32 v3, v87, v0
	global_load_dwordx2 v[0:1], v[114:115], off offset:1792
	ds_write2_b64 v247, v[4:5], v[2:3] offset0:96 offset1:192
	s_waitcnt vmcnt(0)
	v_mul_f32_e32 v2, v83, v1
	v_mul_f32_e32 v3, v82, v1
	v_fma_f32 v2, v82, v0, -v2
	v_fmac_f32_e32 v3, v83, v0
	ds_write_b64 v240, v[2:3] offset:22272
	s_waitcnt lgkmcnt(0)
	s_barrier
	ds_read2_b64 v[156:159], v240 offset1:96
	ds_read2_b64 v[80:83], v242 offset0:128 offset1:224
	ds_read2_b64 v[140:143], v255 offset0:64 offset1:160
	ds_read2_b64 v[84:87], v39 offset0:64 offset1:160
	ds_read2_b64 v[144:147], v189 offset0:128 offset1:224
	ds_read2_b64 v[88:91], v185 offset1:96
	ds_read2_b64 v[148:151], v246 offset0:64 offset1:160
	ds_read2_b64 v[92:95], v43 offset0:64 offset1:160
	ds_read2_b64 v[152:155], v247 offset1:96
	ds_read2_b64 v[96:99], v245 offset0:128 offset1:224
	s_waitcnt lgkmcnt(5)
	v_pk_add_f32 v[110:111], v[142:143], v[146:147] neg_lo:[0,1] neg_hi:[0,1]
	s_waitcnt lgkmcnt(4)
	v_mov_b32_e32 v2, v88
	v_mov_b32_e32 v6, v84
	s_waitcnt lgkmcnt(2)
	v_mov_b32_e32 v3, v92
	s_waitcnt lgkmcnt(0)
	v_mov_b32_e32 v7, v96
	v_pk_add_f32 v[4:5], v[84:85], v[96:97]
	v_pk_add_f32 v[2:3], v[2:3], v[6:7] neg_lo:[0,1] neg_hi:[0,1]
	v_fma_f32 v15, -0.5, v4, v80
	v_mov_b32_e32 v4, v3
	v_pk_add_f32 v[6:7], v[2:3], v[4:5]
	v_fma_f32 v19, -0.5, v5, v81
	v_mov_b32_e32 v4, v89
	v_mov_b32_e32 v5, v93
	;; [unrolled: 1-line block ×4, first 2 shown]
	v_pk_add_f32 v[4:5], v[4:5], v[8:9] neg_lo:[0,1] neg_hi:[0,1]
	v_pk_add_f32 v[104:105], v[142:143], v[154:155] neg_lo:[0,1] neg_hi:[0,1]
	v_mov_b32_e32 v8, v5
	v_pk_add_f32 v[4:5], v[4:5], v[8:9]
	v_pk_add_f32 v[8:9], v[146:147], v[150:151]
	v_pk_mul_f32 v[102:103], v[104:105], s[12:13] op_sel_hi:[1,0]
	v_pk_fma_f32 v[8:9], v[8:9], 0.5, v[158:159] op_sel_hi:[1,0,1] neg_lo:[1,0,0] neg_hi:[1,0,0]
	v_pk_add_f32 v[106:107], v[146:147], v[150:151] neg_lo:[0,1] neg_hi:[0,1]
	v_pk_add_f32 v[112:113], v[154:155], v[150:151] neg_lo:[0,1] neg_hi:[0,1]
	v_pk_mul_f32 v[108:109], v[106:107], s[8:9] op_sel_hi:[1,0]
	v_pk_add_f32 v[110:111], v[110:111], v[112:113]
	v_pk_add_f32 v[112:113], v[8:9], v[102:103] op_sel:[0,1] op_sel_hi:[1,0] neg_lo:[0,1] neg_hi:[0,1]
	v_pk_add_f32 v[8:9], v[8:9], v[102:103] op_sel:[0,1] op_sel_hi:[1,0]
	v_pk_add_f32 v[2:3], v[80:81], v[84:85]
	v_pk_add_f32 v[8:9], v[8:9], v[108:109] op_sel:[0,1] op_sel_hi:[1,0]
	v_pk_add_f32 v[108:109], v[112:113], v[108:109] op_sel:[0,1] op_sel_hi:[1,0] neg_lo:[0,1] neg_hi:[0,1]
	v_mov_b32_e32 v103, v9
	v_mov_b32_e32 v102, v108
	v_pk_fma_f32 v[112:113], v[110:111], s[10:11], v[102:103] op_sel_hi:[1,0,1]
	v_pk_add_f32 v[102:103], v[88:89], v[92:93]
	v_pk_add_f32 v[118:119], v[88:89], v[92:93] neg_lo:[0,1] neg_hi:[0,1]
	v_pk_fma_f32 v[80:81], v[102:103], 0.5, v[80:81] op_sel_hi:[1,0,1] neg_lo:[1,0,0] neg_hi:[1,0,0]
	v_pk_add_f32 v[102:103], v[84:85], v[96:97] neg_lo:[0,1] neg_hi:[0,1]
	v_pk_add_f32 v[2:3], v[2:3], v[88:89]
	v_pk_mul_f32 v[114:115], v[102:103], s[12:13] op_sel_hi:[1,0]
	v_pk_mul_f32 v[120:121], v[118:119], s[8:9] op_sel_hi:[1,0]
	v_pk_add_f32 v[116:117], v[80:81], v[114:115] op_sel:[0,1] op_sel_hi:[1,0]
	v_pk_add_f32 v[84:85], v[84:85], v[88:89] neg_lo:[0,1] neg_hi:[0,1]
	v_pk_add_f32 v[88:89], v[96:97], v[92:93] neg_lo:[0,1] neg_hi:[0,1]
	v_pk_add_f32 v[116:117], v[120:121], v[116:117] op_sel:[1,0] op_sel_hi:[0,1]
	v_pk_add_f32 v[84:85], v[84:85], v[88:89]
	v_mov_b32_e32 v7, v103
	v_pk_fma_f32 v[88:89], v[84:85], s[10:11], v[116:117] op_sel_hi:[1,0,1]
	s_mov_b32 s11, s8
	v_pk_add_f32 v[80:81], v[80:81], v[114:115] op_sel:[0,1] op_sel_hi:[1,0] neg_lo:[0,1] neg_hi:[0,1]
	v_fmamk_f32 v5, v119, 0x3f737871, v15
	v_pk_mul_f32 v[6:7], v[6:7], s[10:11]
	v_pk_add_f32 v[80:81], v[80:81], v[120:121] op_sel:[0,1] op_sel_hi:[1,0] neg_lo:[0,1] neg_hi:[0,1]
	v_pk_add_f32 v[2:3], v[2:3], v[92:93]
	v_sub_f32_e32 v5, v5, v7
	v_fmac_f32_e32 v15, 0xbf737871, v119
	v_mov_b32_e32 v116, v80
	v_pk_add_f32 v[2:3], v[2:3], v[96:97]
	v_add_f32_e32 v92, v6, v5
	v_add_f32_e32 v5, v7, v15
	v_pk_fma_f32 v[96:97], v[84:85], s[10:11], v[116:117] op_sel_hi:[1,0,1]
	v_add_f32_e32 v6, v6, v5
	v_mov_b32_e32 v5, v102
	v_pk_mul_f32 v[102:103], v[96:97], s[8:9] op_sel_hi:[1,0]
	v_fmamk_f32 v7, v118, 0xbf737871, v19
	v_pk_fma_f32 v[114:115], v[96:97], s[14:15], v[102:103] op_sel:[0,0,1] op_sel_hi:[1,0,0] neg_lo:[0,0,1] neg_hi:[0,0,1]
	v_pk_fma_f32 v[96:97], v[96:97], s[14:15], v[102:103] op_sel:[0,0,1] op_sel_hi:[1,0,0]
	v_pk_mul_f32 v[4:5], v[4:5], s[10:11]
	v_mov_b32_e32 v115, v97
	v_pk_add_f32 v[96:97], v[142:143], v[154:155]
	v_add_f32_e32 v7, v5, v7
	v_fmac_f32_e32 v19, 0x3f737871, v118
	v_pk_fma_f32 v[96:97], v[96:97], 0.5, v[158:159] op_sel_hi:[1,0,1] neg_lo:[1,0,0] neg_hi:[1,0,0]
	v_pk_add_f32 v[116:117], v[146:147], v[142:143] neg_lo:[0,1] neg_hi:[0,1]
	v_pk_add_f32 v[118:119], v[150:151], v[154:155] neg_lo:[0,1] neg_hi:[0,1]
	v_pk_mul_f32 v[106:107], v[106:107], s[12:13] op_sel_hi:[1,0]
	v_pk_fma_f32 v[80:81], v[84:85], s[10:11], v[80:81] op_sel_hi:[1,0,1]
	v_add_f32_e32 v84, v4, v7
	v_pk_add_f32 v[116:117], v[116:117], v[118:119]
	v_pk_mul_f32 v[104:105], v[104:105], s[8:9] op_sel_hi:[1,0]
	v_pk_add_f32 v[118:119], v[96:97], v[106:107] op_sel:[0,1] op_sel_hi:[1,0]
	v_pk_add_f32 v[96:97], v[96:97], v[106:107] op_sel:[0,1] op_sel_hi:[1,0] neg_lo:[0,1] neg_hi:[0,1]
	s_mov_b32 s13, s10
	v_sub_f32_e32 v5, v19, v5
	v_pk_add_f32 v[96:97], v[96:97], v[104:105] op_sel:[0,1] op_sel_hi:[1,0]
	v_pk_add_f32 v[104:105], v[118:119], v[104:105] op_sel:[0,1] op_sel_hi:[1,0] neg_lo:[0,1] neg_hi:[0,1]
	v_pk_mul_f32 v[84:85], v[84:85], s[12:13] op_sel_hi:[0,1]
	v_pk_add_f32 v[0:1], v[158:159], v[142:143]
	v_add_f32_e32 v4, v4, v5
	v_mov_b32_e32 v106, v104
	v_mov_b32_e32 v107, v97
	v_pk_fma_f32 v[118:119], v[92:93], s[20:21], v[84:85] neg_lo:[0,0,1] neg_hi:[0,0,1]
	v_pk_fma_f32 v[84:85], v[92:93], s[20:21], v[84:85] op_sel_hi:[0,1,1]
	v_pk_add_f32 v[0:1], v[0:1], v[146:147]
	v_pk_fma_f32 v[106:107], v[116:117], s[10:11], v[106:107] op_sel_hi:[1,0,1]
	v_mov_b32_e32 v119, v85
	v_pk_mul_f32 v[4:5], v[4:5], s[12:13] op_sel_hi:[0,1]
	v_mov_b32_e32 v97, v105
	v_mov_b32_e32 v9, v109
	v_pk_add_f32 v[0:1], v[0:1], v[150:151]
	v_pk_add_f32 v[102:103], v[112:113], v[114:115]
	;; [unrolled: 1-line block ×3, first 2 shown]
	v_pk_fma_f32 v[4:5], v[6:7], s[18:19], v[4:5] op_sel_hi:[0,1,1] neg_lo:[0,0,1] neg_hi:[0,0,1]
	v_pk_fma_f32 v[6:7], v[116:117], s[10:11], v[96:97] op_sel_hi:[1,0,1]
	v_pk_fma_f32 v[8:9], v[110:111], s[10:11], v[8:9] op_sel_hi:[1,0,1]
	v_pk_add_f32 v[132:133], v[112:113], v[114:115] neg_lo:[0,1] neg_hi:[0,1]
	v_pk_add_f32 v[134:135], v[106:107], v[118:119] neg_lo:[0,1] neg_hi:[0,1]
	ds_read2_b64 v[120:123], v243 offset0:64 offset1:160
	ds_read2_b64 v[112:115], v201 offset1:96
	ds_read2_b64 v[116:119], v254 offset0:64 offset1:160
	ds_read2_b64 v[104:107], v244 offset0:128 offset1:224
	;; [unrolled: 1-line block ×3, first 2 shown]
	v_pk_add_f32 v[0:1], v[0:1], v[154:155]
	v_pk_add_f32 v[126:127], v[6:7], v[4:5]
	;; [unrolled: 1-line block ×3, first 2 shown]
	v_pk_add_f32 v[138:139], v[0:1], v[2:3] neg_lo:[0,1] neg_hi:[0,1]
	s_waitcnt lgkmcnt(3)
	v_pk_add_f32 v[0:1], v[120:121], v[112:113]
	v_pk_add_f32 v[128:129], v[6:7], v[4:5] neg_lo:[0,1] neg_hi:[0,1]
	s_waitcnt lgkmcnt(2)
	v_pk_add_f32 v[0:1], v[0:1], v[116:117]
	v_mov_b32_e32 v2, v90
	s_waitcnt lgkmcnt(1)
	v_pk_add_f32 v[0:1], v[0:1], v[104:105]
	v_mov_b32_e32 v3, v94
	v_mov_b32_e32 v4, v86
	;; [unrolled: 1-line block ×3, first 2 shown]
	s_waitcnt lgkmcnt(0)
	v_pk_add_f32 v[84:85], v[0:1], v[108:109]
	v_pk_add_f32 v[0:1], v[86:87], v[98:99]
	v_pk_add_f32 v[2:3], v[2:3], v[4:5] neg_lo:[0,1] neg_hi:[0,1]
	v_fma_f32 v19, -0.5, v0, v82
	v_mov_b32_e32 v0, v3
	v_pk_add_f32 v[96:97], v[2:3], v[0:1]
	v_pk_add_f32 v[2:3], v[82:83], v[86:87]
	v_pk_mul_f32 v[80:81], v[80:81], s[8:9] op_sel:[1,0]
	v_pk_add_f32 v[2:3], v[2:3], v[90:91]
	v_pk_fma_f32 v[80:81], v[88:89], s[16:17], v[80:81] op_sel_hi:[0,1,1] neg_lo:[0,0,1] neg_hi:[0,0,1]
	v_pk_add_f32 v[2:3], v[2:3], v[94:95]
	v_fma_f32 v15, -0.5, v1, v83
	v_pk_add_f32 v[88:89], v[2:3], v[98:99]
	v_mov_b32_e32 v0, v91
	v_mov_b32_e32 v1, v95
	;; [unrolled: 1-line block ×4, first 2 shown]
	v_pk_add_f32 v[0:1], v[0:1], v[2:3] neg_lo:[0,1] neg_hi:[0,1]
	v_mov_b32_e32 v4, v114
	v_mov_b32_e32 v2, v1
	v_pk_add_f32 v[92:93], v[0:1], v[2:3]
	v_pk_add_f32 v[0:1], v[156:157], v[140:141]
	v_mov_b32_e32 v5, v110
	v_pk_add_f32 v[0:1], v[0:1], v[144:145]
	v_pk_add_f32 v[2:3], v[114:115], v[110:111]
	;; [unrolled: 1-line block ×3, first 2 shown]
	v_fma_f32 v27, -0.5, v2, v122
	v_pk_add_f32 v[142:143], v[0:1], v[152:153]
	v_mov_b32_e32 v0, v118
	v_mov_b32_e32 v1, v106
	v_pk_add_f32 v[0:1], v[0:1], v[4:5] neg_lo:[0,1] neg_hi:[0,1]
	v_pk_add_f32 v[4:5], v[122:123], v[114:115]
	v_mov_b32_e32 v2, v1
	v_pk_add_f32 v[4:5], v[4:5], v[118:119]
	v_pk_add_f32 v[0:1], v[0:1], v[2:3]
	;; [unrolled: 1-line block ×3, first 2 shown]
	v_fma_f32 v23, -0.5, v3, v123
	v_pk_add_f32 v[146:147], v[4:5], v[110:111]
	v_mov_b32_e32 v2, v119
	v_mov_b32_e32 v3, v107
	;; [unrolled: 1-line block ×4, first 2 shown]
	v_pk_add_f32 v[2:3], v[2:3], v[4:5] neg_lo:[0,1] neg_hi:[0,1]
	v_pk_add_f32 v[150:151], v[140:141], v[152:153] neg_lo:[0,1] neg_hi:[0,1]
	v_mov_b32_e32 v4, v3
	v_pk_add_f32 v[160:161], v[2:3], v[4:5]
	v_pk_add_f32 v[2:3], v[144:145], v[148:149]
	;; [unrolled: 1-line block ×3, first 2 shown]
	v_pk_add_f32 v[130:131], v[8:9], v[80:81] neg_lo:[0,1] neg_hi:[0,1]
	v_pk_fma_f32 v[6:7], v[2:3], 0.5, v[156:157] op_sel_hi:[1,0,1] neg_lo:[1,0,0] neg_hi:[1,0,0]
	v_pk_mul_f32 v[2:3], v[150:151], s[12:13] op_sel_hi:[1,0]
	v_pk_add_f32 v[154:155], v[144:145], v[148:149] neg_lo:[0,1] neg_hi:[0,1]
	v_pk_add_f32 v[8:9], v[140:141], v[144:145] neg_lo:[0,1] neg_hi:[0,1]
	;; [unrolled: 1-line block ×3, first 2 shown]
	v_pk_mul_f32 v[4:5], v[154:155], s[8:9] op_sel_hi:[1,0]
	v_pk_add_f32 v[8:9], v[8:9], v[254:255]
	v_pk_add_f32 v[254:255], v[6:7], v[2:3] op_sel:[0,1] op_sel_hi:[1,0] neg_lo:[0,1] neg_hi:[0,1]
	v_pk_add_f32 v[2:3], v[6:7], v[2:3] op_sel:[0,1] op_sel_hi:[1,0]
	v_pk_add_f32 v[244:245], v[118:119], v[106:107] neg_lo:[0,1] neg_hi:[0,1]
	v_pk_add_f32 v[6:7], v[2:3], v[4:5] op_sel:[0,1] op_sel_hi:[1,0]
	v_pk_add_f32 v[4:5], v[254:255], v[4:5] op_sel:[0,1] op_sel_hi:[1,0] neg_lo:[0,1] neg_hi:[0,1]
	v_pk_add_f32 v[254:255], v[118:119], v[106:107]
	v_pk_add_f32 v[106:107], v[110:111], v[106:107] neg_lo:[0,1] neg_hi:[0,1]
	v_pk_fma_f32 v[122:123], v[254:255], 0.5, v[122:123] op_sel_hi:[1,0,1] neg_lo:[1,0,0] neg_hi:[1,0,0]
	v_pk_add_f32 v[254:255], v[114:115], v[110:111] neg_lo:[0,1] neg_hi:[0,1]
	v_pk_add_f32 v[114:115], v[114:115], v[118:119] neg_lo:[0,1] neg_hi:[0,1]
	v_pk_mul_f32 v[176:177], v[254:255], s[12:13] op_sel_hi:[1,0]
	v_pk_mul_f32 v[242:243], v[244:245], s[8:9] op_sel_hi:[1,0]
	v_pk_add_f32 v[246:247], v[122:123], v[176:177] op_sel:[0,1] op_sel_hi:[1,0]
	v_pk_add_f32 v[110:111], v[114:115], v[106:107]
	v_mov_b32_e32 v1, v255
	v_pk_add_f32 v[114:115], v[122:123], v[176:177] op_sel:[0,1] op_sel_hi:[1,0] neg_lo:[0,1] neg_hi:[0,1]
	v_mov_b32_e32 v2, v4
	v_pk_add_f32 v[246:247], v[242:243], v[246:247] op_sel:[1,0] op_sel_hi:[0,1]
	v_fmamk_f32 v4, v245, 0x3f737871, v27
	v_pk_mul_f32 v[0:1], v[0:1], s[10:11]
	v_fmac_f32_e32 v27, 0xbf737871, v245
	v_pk_add_f32 v[114:115], v[114:115], v[242:243] op_sel:[0,1] op_sel_hi:[1,0] neg_lo:[0,1] neg_hi:[0,1]
	v_pk_fma_f32 v[106:107], v[110:111], s[10:11], v[246:247] op_sel_hi:[1,0,1]
	v_sub_f32_e32 v4, v4, v1
	v_add_f32_e32 v1, v1, v27
	v_mov_b32_e32 v246, v114
	v_mov_b32_e32 v161, v254
	v_add_f32_e32 v4, v0, v4
	v_add_f32_e32 v0, v0, v1
	v_pk_fma_f32 v[118:119], v[110:111], s[10:11], v[246:247] op_sel_hi:[1,0,1]
	v_pk_fma_f32 v[110:111], v[110:111], s[10:11], v[114:115] op_sel_hi:[1,0,1]
	v_fmamk_f32 v1, v244, 0xbf737871, v23
	v_pk_mul_f32 v[114:115], v[160:161], s[10:11]
	v_fmac_f32_e32 v23, 0x3f737871, v244
	v_add_f32_e32 v1, v115, v1
	v_add_f32_e32 v122, v114, v1
	v_sub_f32_e32 v1, v23, v115
	v_pk_mul_f32 v[160:161], v[118:119], s[8:9] op_sel_hi:[1,0]
	v_add_f32_e32 v176, v114, v1
	v_pk_fma_f32 v[114:115], v[118:119], s[14:15], v[160:161] op_sel:[0,0,1] op_sel_hi:[1,0,0] neg_lo:[0,0,1] neg_hi:[0,0,1]
	v_pk_fma_f32 v[118:119], v[118:119], s[14:15], v[160:161] op_sel:[0,0,1] op_sel_hi:[1,0,0]
	v_pk_mul_f32 v[122:123], v[122:123], s[12:13] op_sel_hi:[0,1]
	v_mov_b32_e32 v115, v119
	v_pk_add_f32 v[118:119], v[140:141], v[152:153]
	v_pk_add_f32 v[140:141], v[144:145], v[140:141] neg_lo:[0,1] neg_hi:[0,1]
	v_pk_add_f32 v[144:145], v[148:149], v[152:153] neg_lo:[0,1] neg_hi:[0,1]
	v_pk_fma_f32 v[118:119], v[118:119], 0.5, v[156:157] op_sel_hi:[1,0,1] neg_lo:[1,0,0] neg_hi:[1,0,0]
	v_pk_add_f32 v[140:141], v[140:141], v[144:145]
	v_pk_mul_f32 v[144:145], v[154:155], s[12:13] op_sel_hi:[1,0]
	v_pk_fma_f32 v[154:155], v[4:5], s[20:21], v[122:123] neg_lo:[0,0,1] neg_hi:[0,0,1]
	v_pk_fma_f32 v[122:123], v[4:5], s[20:21], v[122:123] op_sel_hi:[0,1,1]
	v_pk_mul_f32 v[148:149], v[150:151], s[8:9] op_sel_hi:[1,0]
	v_pk_add_f32 v[150:151], v[118:119], v[144:145] op_sel:[0,1] op_sel_hi:[1,0]
	v_pk_add_f32 v[118:119], v[118:119], v[144:145] op_sel:[0,1] op_sel_hi:[1,0] neg_lo:[0,1] neg_hi:[0,1]
	v_mov_b32_e32 v155, v123
	v_pk_mul_f32 v[122:123], v[176:177], s[12:13] op_sel_hi:[0,1]
	v_mov_b32_e32 v3, v7
	v_pk_add_f32 v[118:119], v[118:119], v[148:149] op_sel:[0,1] op_sel_hi:[1,0]
	v_pk_add_f32 v[144:145], v[150:151], v[148:149] op_sel:[0,1] op_sel_hi:[1,0] neg_lo:[0,1] neg_hi:[0,1]
	v_pk_fma_f32 v[122:123], v[0:1], s[18:19], v[122:123] op_sel_hi:[0,1,1] neg_lo:[0,0,1] neg_hi:[0,0,1]
	v_mov_b32_e32 v7, v5
	v_pk_mul_f32 v[0:1], v[110:111], s[8:9] op_sel:[1,0]
	v_pk_fma_f32 v[2:3], v[8:9], s[10:11], v[2:3] op_sel_hi:[1,0,1]
	v_mov_b32_e32 v148, v144
	v_mov_b32_e32 v149, v119
	v_pk_fma_f32 v[8:9], v[8:9], s[10:11], v[6:7] op_sel_hi:[1,0,1]
	v_pk_fma_f32 v[106:107], v[106:107], s[16:17], v[0:1] op_sel_hi:[0,1,1] neg_lo:[0,0,1] neg_hi:[0,0,1]
	v_accvgpr_read_b32 v23, a79
	v_pk_fma_f32 v[152:153], v[140:141], s[10:11], v[148:149] op_sel_hi:[1,0,1]
	v_mov_b32_e32 v119, v145
	v_pk_add_f32 v[4:5], v[8:9], v[106:107]
	v_pk_add_f32 v[6:7], v[142:143], v[146:147] neg_lo:[0,1] neg_hi:[0,1]
	s_barrier
	v_pk_add_f32 v[160:161], v[2:3], v[114:115]
	v_pk_fma_f32 v[118:119], v[140:141], s[10:11], v[118:119] op_sel_hi:[1,0,1]
	ds_write_b128 v23, v[4:7] offset:32
	v_accvgpr_read_b32 v4, a79
	v_pk_add_f32 v[0:1], v[2:3], v[114:115] neg_lo:[0,1] neg_hi:[0,1]
	v_pk_add_f32 v[2:3], v[152:153], v[154:155] neg_lo:[0,1] neg_hi:[0,1]
	ds_write_b128 v4, v[0:3] offset:48
	v_pk_add_f32 v[0:1], v[118:119], v[122:123] neg_lo:[0,1] neg_hi:[0,1]
	v_pk_add_f32 v[2:3], v[8:9], v[106:107] neg_lo:[0,1] neg_hi:[0,1]
	v_pk_add_f32 v[158:159], v[142:143], v[146:147]
	v_pk_add_f32 v[148:149], v[152:153], v[154:155]
	;; [unrolled: 1-line block ×3, first 2 shown]
	ds_write_b128 v4, v[0:3] offset:64
	v_accvgpr_read_b32 v0, a72
	ds_write_b128 v23, v[158:161]
	ds_write_b128 v23, v[148:151] offset:16
	ds_write_b128 v0, v[100:103]
	ds_write_b128 v0, v[124:127] offset:16
	ds_write_b128 v0, v[136:139] offset:32
	ds_write_b128 v0, v[132:135] offset:48
	ds_write_b128 v0, v[128:131] offset:64
	v_pk_add_f32 v[0:1], v[116:117], v[104:105]
	v_pk_add_f32 v[106:107], v[112:113], v[108:109] neg_lo:[0,1] neg_hi:[0,1]
	v_pk_fma_f32 v[0:1], v[0:1], 0.5, v[120:121] op_sel_hi:[1,0,1] neg_lo:[1,0,0] neg_hi:[1,0,0]
	v_pk_mul_f32 v[4:5], v[106:107], s[12:13] op_sel_hi:[1,0]
	v_pk_add_f32 v[110:111], v[116:117], v[104:105] neg_lo:[0,1] neg_hi:[0,1]
	v_pk_add_f32 v[2:3], v[112:113], v[116:117] neg_lo:[0,1] neg_hi:[0,1]
	;; [unrolled: 1-line block ×3, first 2 shown]
	v_pk_mul_f32 v[6:7], v[110:111], s[8:9] op_sel_hi:[1,0]
	v_pk_add_f32 v[2:3], v[2:3], v[8:9]
	v_pk_add_f32 v[8:9], v[0:1], v[4:5] op_sel:[0,1] op_sel_hi:[1,0] neg_lo:[0,1] neg_hi:[0,1]
	v_pk_add_f32 v[0:1], v[0:1], v[4:5] op_sel:[0,1] op_sel_hi:[1,0]
	v_pk_add_f32 v[102:103], v[8:9], v[6:7] op_sel:[0,1] op_sel_hi:[1,0] neg_lo:[0,1] neg_hi:[0,1]
	v_pk_add_f32 v[4:5], v[90:91], v[94:95]
	v_pk_add_f32 v[8:9], v[86:87], v[98:99] neg_lo:[0,1] neg_hi:[0,1]
	v_pk_fma_f32 v[4:5], v[4:5], 0.5, v[82:83] op_sel_hi:[1,0,1] neg_lo:[1,0,0] neg_hi:[1,0,0]
	v_pk_mul_f32 v[82:83], v[8:9], s[12:13] op_sel_hi:[1,0]
	v_pk_add_f32 v[114:115], v[90:91], v[94:95] neg_lo:[0,1] neg_hi:[0,1]
	v_pk_add_f32 v[100:101], v[0:1], v[6:7] op_sel:[0,1] op_sel_hi:[1,0]
	v_pk_add_f32 v[6:7], v[4:5], v[82:83] op_sel:[0,1] op_sel_hi:[1,0]
	v_pk_mul_f32 v[118:119], v[114:115], s[8:9] op_sel_hi:[1,0]
	v_pk_add_f32 v[4:5], v[4:5], v[82:83] op_sel:[0,1] op_sel_hi:[1,0] neg_lo:[0,1] neg_hi:[0,1]
	v_pk_add_f32 v[122:123], v[118:119], v[6:7] op_sel:[1,0] op_sel_hi:[0,1]
	v_pk_add_f32 v[6:7], v[86:87], v[90:91] neg_lo:[0,1] neg_hi:[0,1]
	v_pk_add_f32 v[86:87], v[98:99], v[94:95] neg_lo:[0,1] neg_hi:[0,1]
	v_pk_add_f32 v[4:5], v[4:5], v[118:119] op_sel:[0,1] op_sel_hi:[1,0] neg_lo:[0,1] neg_hi:[0,1]
	v_pk_add_f32 v[90:91], v[6:7], v[86:87]
	v_mov_b32_e32 v97, v9
	v_pk_fma_f32 v[86:87], v[90:91], s[10:11], v[122:123] op_sel_hi:[1,0,1]
	v_mov_b32_e32 v122, v4
	v_fmamk_f32 v23, v115, 0x3f737871, v19
	v_pk_mul_f32 v[6:7], v[96:97], s[10:11]
	v_fmac_f32_e32 v19, 0xbf737871, v115
	v_pk_fma_f32 v[82:83], v[90:91], s[10:11], v[122:123] op_sel_hi:[1,0,1]
	v_sub_f32_e32 v9, v23, v7
	v_add_f32_e32 v7, v7, v19
	v_mov_b32_e32 v93, v8
	v_pk_mul_f32 v[96:97], v[82:83], s[8:9] op_sel_hi:[1,0]
	v_mov_b32_e32 v0, v102
	v_mov_b32_e32 v1, v101
	v_add_f32_e32 v94, v6, v9
	v_add_f32_e32 v6, v6, v7
	v_pk_fma_f32 v[4:5], v[90:91], s[10:11], v[4:5] op_sel_hi:[1,0,1]
	v_fmamk_f32 v7, v114, 0xbf737871, v15
	v_pk_mul_f32 v[8:9], v[92:93], s[10:11]
	v_pk_fma_f32 v[90:91], v[82:83], s[14:15], v[96:97] op_sel:[0,0,1] op_sel_hi:[1,0,0] neg_lo:[0,0,1] neg_hi:[0,0,1]
	v_pk_fma_f32 v[82:83], v[82:83], s[14:15], v[96:97] op_sel:[0,0,1] op_sel_hi:[1,0,0]
	v_pk_fma_f32 v[0:1], v[2:3], s[10:11], v[0:1] op_sel_hi:[1,0,1]
	v_add_f32_e32 v7, v9, v7
	v_fmac_f32_e32 v15, 0x3f737871, v114
	v_mov_b32_e32 v91, v83
	v_pk_add_f32 v[80:81], v[84:85], v[88:89]
	v_add_f32_e32 v92, v8, v7
	v_sub_f32_e32 v7, v15, v9
	v_pk_add_f32 v[82:83], v[0:1], v[90:91]
	v_accvgpr_read_b32 v15, a73
	ds_write_b128 v15, v[80:83]
	v_pk_add_f32 v[80:81], v[112:113], v[108:109]
	v_pk_add_f32 v[82:83], v[116:117], v[112:113] neg_lo:[0,1] neg_hi:[0,1]
	v_pk_add_f32 v[96:97], v[104:105], v[108:109] neg_lo:[0,1] neg_hi:[0,1]
	v_pk_fma_f32 v[80:81], v[80:81], 0.5, v[120:121] op_sel_hi:[1,0,1] neg_lo:[1,0,0] neg_hi:[1,0,0]
	v_pk_add_f32 v[82:83], v[82:83], v[96:97]
	v_pk_mul_f32 v[96:97], v[110:111], s[12:13] op_sel_hi:[1,0]
	v_pk_mul_f32 v[98:99], v[106:107], s[8:9] op_sel_hi:[1,0]
	v_pk_add_f32 v[104:105], v[80:81], v[96:97] op_sel:[0,1] op_sel_hi:[1,0]
	v_pk_add_f32 v[80:81], v[80:81], v[96:97] op_sel:[0,1] op_sel_hi:[1,0] neg_lo:[0,1] neg_hi:[0,1]
	v_add_f32_e32 v8, v8, v7
	v_pk_add_f32 v[96:97], v[80:81], v[98:99] op_sel:[0,1] op_sel_hi:[1,0]
	v_pk_add_f32 v[98:99], v[104:105], v[98:99] op_sel:[0,1] op_sel_hi:[1,0] neg_lo:[0,1] neg_hi:[0,1]
	v_mov_b32_e32 v81, v97
	v_mov_b32_e32 v80, v98
	v_pk_fma_f32 v[104:105], v[82:83], s[10:11], v[80:81] op_sel_hi:[1,0,1]
	v_pk_mul_f32 v[80:81], v[92:93], s[12:13] op_sel_hi:[0,1]
	v_pk_fma_f32 v[92:93], v[94:95], s[20:21], v[80:81] neg_lo:[0,0,1] neg_hi:[0,0,1]
	v_pk_fma_f32 v[80:81], v[94:95], s[20:21], v[80:81] op_sel_hi:[0,1,1]
	v_pk_mul_f32 v[8:9], v[8:9], s[12:13] op_sel_hi:[0,1]
	v_mov_b32_e32 v97, v99
	v_mov_b32_e32 v93, v81
	v_pk_fma_f32 v[6:7], v[6:7], s[18:19], v[8:9] op_sel_hi:[0,1,1] neg_lo:[0,0,1] neg_hi:[0,0,1]
	v_pk_fma_f32 v[8:9], v[82:83], s[10:11], v[96:97] op_sel_hi:[1,0,1]
	v_pk_add_f32 v[80:81], v[104:105], v[92:93]
	v_pk_add_f32 v[82:83], v[8:9], v[6:7]
	v_mov_b32_e32 v101, v103
	ds_write_b128 v15, v[80:83] offset:16
	v_pk_fma_f32 v[80:81], v[2:3], s[10:11], v[100:101] op_sel_hi:[1,0,1]
	v_pk_mul_f32 v[2:3], v[4:5], s[8:9] op_sel:[1,0]
	v_pk_add_f32 v[4:5], v[84:85], v[88:89] neg_lo:[0,1] neg_hi:[0,1]
	v_pk_fma_f32 v[82:83], v[86:87], s[16:17], v[2:3] op_sel_hi:[0,1,1] neg_lo:[0,0,1] neg_hi:[0,0,1]
	v_pk_add_f32 v[2:3], v[80:81], v[82:83]
	ds_write_b128 v15, v[2:5] offset:32
	v_accvgpr_read_b32 v4, a73
	v_pk_add_f32 v[0:1], v[0:1], v[90:91] neg_lo:[0,1] neg_hi:[0,1]
	v_pk_add_f32 v[2:3], v[104:105], v[92:93] neg_lo:[0,1] neg_hi:[0,1]
	ds_write_b128 v4, v[0:3] offset:48
	v_pk_add_f32 v[0:1], v[8:9], v[6:7] neg_lo:[0,1] neg_hi:[0,1]
	v_pk_add_f32 v[2:3], v[80:81], v[82:83] neg_lo:[0,1] neg_hi:[0,1]
	ds_write_b128 v4, v[0:3] offset:64
	s_waitcnt lgkmcnt(0)
	s_barrier
	ds_read2_b64 v[88:91], v241 offset0:128 offset1:224
	ds_read2_b64 v[84:87], v55 offset0:64 offset1:160
	ds_read2_b64 v[80:83], v181 offset1:96
	v_mov_b32_e32 v0, v71
	v_mov_b32_e32 v43, v55
	v_accvgpr_read_b32 v121, a115
	s_waitcnt lgkmcnt(1)
	v_pk_mul_f32 v[0:1], v[0:1], v[84:85] op_sel_hi:[0,1]
	v_pk_fma_f32 v[8:9], v[70:71], v[84:85], v[0:1] op_sel:[0,0,1] op_sel_hi:[1,1,0]
	v_pk_fma_f32 v[0:1], v[70:71], v[84:85], v[0:1] op_sel:[0,0,1] op_sel_hi:[0,1,0] neg_lo:[0,0,1] neg_hi:[0,0,1]
	v_mov_b32_e32 v0, v67
	v_mov_b32_e32 v9, v1
	s_waitcnt lgkmcnt(0)
	v_pk_mul_f32 v[0:1], v[0:1], v[80:81] op_sel_hi:[0,1]
	v_pk_fma_f32 v[84:85], v[66:67], v[80:81], v[0:1] op_sel:[0,0,1] op_sel_hi:[1,1,0]
	v_pk_fma_f32 v[0:1], v[66:67], v[80:81], v[0:1] op_sel:[0,0,1] op_sel_hi:[0,1,0] neg_lo:[0,0,1] neg_hi:[0,0,1]
	v_mov_b32_e32 v85, v1
	v_pk_add_f32 v[0:1], v[8:9], v[84:85]
	v_pk_add_f32 v[2:3], v[8:9], v[84:85] neg_lo:[0,1] neg_hi:[0,1]
	v_pk_fma_f32 v[0:1], v[0:1], 0.5, v[88:89] op_sel_hi:[1,0,1] neg_lo:[1,0,0] neg_hi:[1,0,0]
	v_pk_mul_f32 v[2:3], v[2:3], s[2:3] op_sel_hi:[1,0]
	s_mov_b32 s3, s4
	v_pk_add_f32 v[66:67], v[0:1], v[2:3] op_sel:[0,1] op_sel_hi:[1,0] neg_lo:[0,1] neg_hi:[0,1]
	v_pk_add_f32 v[80:81], v[2:3], v[0:1] op_sel:[1,0] op_sel_hi:[0,1]
	ds_read2_b64 v[0:3], v201 offset1:96
	ds_read2_b64 v[4:7], v35 offset0:64 offset1:160
	ds_read2_b64 v[92:95], v251 offset0:128 offset1:224
	v_mov_b32_e32 v71, v67
	v_mov_b32_e32 v35, v51
	;; [unrolled: 1-line block ×3, first 2 shown]
	s_waitcnt lgkmcnt(2)
	v_pk_mul_f32 v[96:97], v[68:69], v[2:3] op_sel:[1,0]
	v_mov_b32_e32 v39, v47
	v_pk_fma_f32 v[98:99], v[68:69], v[2:3], v[96:97] op_sel:[0,0,1] op_sel_hi:[0,1,0]
	v_pk_fma_f32 v[2:3], v[68:69], v[2:3], v[96:97] op_sel:[0,0,1] op_sel_hi:[0,1,0] neg_lo:[0,0,1] neg_hi:[0,0,1]
	s_waitcnt lgkmcnt(1)
	v_pk_mul_f32 v[68:69], v[64:65], v[6:7] op_sel:[1,0]
	v_mov_b32_e32 v99, v3
	v_pk_fma_f32 v[96:97], v[64:65], v[6:7], v[68:69] op_sel:[0,0,1] op_sel_hi:[1,1,0]
	v_pk_fma_f32 v[6:7], v[64:65], v[6:7], v[68:69] op_sel:[0,0,1] op_sel_hi:[0,1,0] neg_lo:[0,0,1] neg_hi:[0,0,1]
	v_accvgpr_read_b32 v68, a94
	v_accvgpr_read_b32 v69, a95
	v_mov_b32_e32 v97, v7
	s_waitcnt lgkmcnt(0)
	v_pk_mul_f32 v[6:7], v[68:69], v[94:95] op_sel:[1,0]
	v_mov_b32_e32 v2, v98
	v_pk_fma_f32 v[64:65], v[68:69], v[94:95], v[6:7] op_sel:[0,0,1] op_sel_hi:[1,1,0]
	v_pk_fma_f32 v[6:7], v[68:69], v[94:95], v[6:7] op_sel:[0,0,1] op_sel_hi:[0,1,0] neg_lo:[0,0,1] neg_hi:[0,0,1]
	v_mov_b32_e32 v65, v7
	v_pk_add_f32 v[6:7], v[96:97], v[64:65]
	v_pk_add_f32 v[68:69], v[96:97], v[64:65] neg_lo:[0,1] neg_hi:[0,1]
	v_fmac_f32_e32 v3, -0.5, v7
	v_fmac_f32_e32 v2, -0.5, v6
	v_fmamk_f32 v7, v68, 0x3f5db3d7, v3
	v_fmamk_f32 v6, v69, 0xbf5db3d7, v2
	v_mul_f32_e32 v15, 0xbf5db3d7, v7
	v_mul_f32_e32 v19, 0.5, v7
	v_fmac_f32_e32 v3, 0xbf5db3d7, v68
	v_fmac_f32_e32 v15, 0.5, v6
	v_fmac_f32_e32 v19, 0x3f5db3d7, v6
	v_pk_add_f32 v[6:7], v[88:89], v[8:9]
	v_pk_add_f32 v[94:95], v[98:99], v[96:97]
	;; [unrolled: 1-line block ×3, first 2 shown]
	v_mov_b32_e32 v6, v3
	v_fmac_f32_e32 v2, 0x3f5db3d7, v69
	v_pk_mul_f32 v[6:7], v[6:7], s[2:3] op_sel_hi:[0,1]
	v_pk_add_f32 v[94:95], v[94:95], v[64:65]
	v_add_f32_e32 v96, v66, v15
	v_pk_fma_f32 v[84:85], v[2:3], s[6:7], v[6:7] op_sel_hi:[0,1,1] neg_lo:[0,0,1] neg_hi:[0,0,1]
	v_sub_f32_e32 v68, v66, v15
	ds_read2_b64 v[64:67], v51 offset0:64 offset1:160
	ds_read2_b64 v[6:9], v189 offset0:128 offset1:224
	v_accvgpr_read_b32 v2, a120
	ds_read2_b64 v[104:107], v31 offset0:64 offset1:160
	v_add_f32_e32 v97, v81, v19
	v_sub_f32_e32 v69, v81, v19
	s_waitcnt lgkmcnt(1)
	v_pk_mul_f32 v[2:3], v[2:3], v[8:9] op_sel_hi:[0,1]
	v_pk_fma_f32 v[100:101], v[54:55], v[8:9], v[2:3] op_sel:[0,0,1] op_sel_hi:[1,1,0]
	v_pk_fma_f32 v[2:3], v[54:55], v[8:9], v[2:3] op_sel:[0,0,1] op_sel_hi:[0,1,0] neg_lo:[0,0,1] neg_hi:[0,0,1]
	v_pk_mul_f32 v[54:55], v[52:53], v[0:1] op_sel:[1,0]
	v_accvgpr_read_b32 v2, a128
	v_pk_fma_f32 v[102:103], v[52:53], v[0:1], v[54:55] op_sel:[0,0,1] op_sel_hi:[0,1,0]
	v_pk_fma_f32 v[0:1], v[52:53], v[0:1], v[54:55] op_sel:[0,0,1] op_sel_hi:[0,1,0] neg_lo:[0,0,1] neg_hi:[0,0,1]
	v_pk_mul_f32 v[52:53], v[48:49], v[4:5] op_sel:[1,0]
	v_mov_b32_e32 v101, v3
	v_pk_fma_f32 v[54:55], v[48:49], v[4:5], v[52:53] op_sel:[0,0,1] op_sel_hi:[1,1,0]
	v_pk_fma_f32 v[4:5], v[48:49], v[4:5], v[52:53] op_sel:[0,0,1] op_sel_hi:[0,1,0] neg_lo:[0,0,1] neg_hi:[0,0,1]
	v_accvgpr_read_b32 v52, a90
	v_accvgpr_read_b32 v53, a91
	s_waitcnt lgkmcnt(0)
	v_pk_mul_f32 v[2:3], v[2:3], v[106:107] op_sel_hi:[0,1]
	v_mov_b32_e32 v55, v5
	v_pk_mul_f32 v[4:5], v[52:53], v[92:93] op_sel:[1,0]
	v_pk_fma_f32 v[8:9], v[50:51], v[106:107], v[2:3] op_sel:[0,0,1] op_sel_hi:[1,1,0]
	v_pk_fma_f32 v[2:3], v[50:51], v[106:107], v[2:3] op_sel:[0,0,1] op_sel_hi:[0,1,0] neg_lo:[0,0,1] neg_hi:[0,0,1]
	v_pk_fma_f32 v[48:49], v[52:53], v[92:93], v[4:5] op_sel:[0,0,1] op_sel_hi:[1,1,0]
	v_pk_fma_f32 v[4:5], v[52:53], v[92:93], v[4:5] op_sel:[0,0,1] op_sel_hi:[0,1,0] neg_lo:[0,0,1] neg_hi:[0,0,1]
	v_mov_b32_e32 v9, v3
	v_mov_b32_e32 v49, v5
	v_pk_add_f32 v[2:3], v[100:101], v[8:9]
	v_pk_add_f32 v[50:51], v[100:101], v[8:9] neg_lo:[0,1] neg_hi:[0,1]
	v_pk_add_f32 v[4:5], v[54:55], v[48:49]
	v_pk_fma_f32 v[2:3], v[2:3], 0.5, v[66:67] op_sel_hi:[1,0,1] neg_lo:[1,0,0] neg_hi:[1,0,0]
	v_pk_mul_f32 v[50:51], v[50:51], s[2:3] op_sel_hi:[1,0]
	v_mov_b32_e32 v103, v1
	v_mov_b32_e32 v0, v102
	v_pk_add_f32 v[52:53], v[54:55], v[48:49] neg_lo:[0,1] neg_hi:[0,1]
	v_fmac_f32_e32 v1, -0.5, v5
	v_pk_add_f32 v[106:107], v[2:3], v[50:51] op_sel:[0,1] op_sel_hi:[1,0] neg_lo:[0,1] neg_hi:[0,1]
	v_pk_add_f32 v[2:3], v[50:51], v[2:3] op_sel:[1,0] op_sel_hi:[0,1]
	v_fmac_f32_e32 v0, -0.5, v4
	v_fmamk_f32 v4, v52, 0x3f5db3d7, v1
	v_mov_b32_e32 v50, v2
	v_fmamk_f32 v2, v53, 0xbf5db3d7, v0
	v_fmac_f32_e32 v1, 0xbf5db3d7, v52
	v_mul_f32_e32 v15, 0xbf5db3d7, v4
	v_mul_f32_e32 v19, 0.5, v4
	v_fmac_f32_e32 v15, 0.5, v2
	v_fmac_f32_e32 v19, 0x3f5db3d7, v2
	v_pk_add_f32 v[4:5], v[66:67], v[100:101]
	v_mov_b32_e32 v2, v1
	v_fmac_f32_e32 v0, 0x3f5db3d7, v53
	v_pk_add_f32 v[54:55], v[102:103], v[54:55]
	v_pk_add_f32 v[102:103], v[4:5], v[8:9]
	v_pk_mul_f32 v[4:5], v[2:3], s[2:3] op_sel_hi:[0,1]
	v_pk_add_f32 v[92:93], v[54:55], v[48:49]
	v_pk_fma_f32 v[54:55], v[0:1], s[6:7], v[4:5] op_sel_hi:[0,1,1] neg_lo:[0,0,1] neg_hi:[0,0,1]
	v_accvgpr_read_b32 v0, a116
	v_pk_mul_f32 v[0:1], v[0:1], v[6:7] op_sel_hi:[0,1]
	v_pk_fma_f32 v[8:9], v[30:31], v[6:7], v[0:1] op_sel:[0,0,1] op_sel_hi:[1,1,0]
	v_pk_fma_f32 v[0:1], v[30:31], v[6:7], v[0:1] op_sel:[0,0,1] op_sel_hi:[0,1,0] neg_lo:[0,0,1] neg_hi:[0,0,1]
	v_accvgpr_read_b32 v0, a126
	v_mov_b32_e32 v9, v1
	v_pk_mul_f32 v[0:1], v[0:1], v[104:105] op_sel_hi:[0,1]
	v_mov_b32_e32 v51, v107
	v_add_f32_e32 v100, v106, v15
	v_sub_f32_e32 v48, v106, v15
	v_pk_fma_f32 v[106:107], v[26:27], v[104:105], v[0:1] op_sel:[0,0,1] op_sel_hi:[1,1,0]
	v_pk_fma_f32 v[0:1], v[26:27], v[104:105], v[0:1] op_sel:[0,0,1] op_sel_hi:[0,1,0] neg_lo:[0,0,1] neg_hi:[0,0,1]
	v_mov_b32_e32 v107, v1
	v_add_f32_e32 v101, v3, v19
	v_sub_f32_e32 v49, v3, v19
	v_pk_add_f32 v[0:1], v[8:9], v[106:107]
	v_pk_add_f32 v[2:3], v[8:9], v[106:107] neg_lo:[0,1] neg_hi:[0,1]
	v_pk_fma_f32 v[0:1], v[0:1], 0.5, v[64:65] op_sel_hi:[1,0,1] neg_lo:[1,0,0] neg_hi:[1,0,0]
	v_pk_mul_f32 v[2:3], v[2:3], s[2:3] op_sel_hi:[1,0]
	v_pk_add_f32 v[66:67], v[102:103], v[92:93] neg_lo:[0,1] neg_hi:[0,1]
	v_pk_add_f32 v[26:27], v[0:1], v[2:3] op_sel:[0,1] op_sel_hi:[1,0] neg_lo:[0,1] neg_hi:[0,1]
	v_pk_add_f32 v[114:115], v[2:3], v[0:1] op_sel:[1,0] op_sel_hi:[0,1]
	ds_read2_b64 v[0:3], v121 offset0:64 offset1:160
	ds_read2_b64 v[4:7], v185 offset1:96
	ds_read2_b64 v[116:119], v47 offset0:64 offset1:160
	v_mov_b32_e32 v31, v27
	v_mov_b32_e32 v30, v114
	s_waitcnt lgkmcnt(2)
	v_pk_mul_f32 v[104:105], v[28:29], v[2:3] op_sel:[1,0]
	v_pk_add_f32 v[52:53], v[50:51], v[54:55] neg_lo:[0,1] neg_hi:[0,1]
	v_pk_fma_f32 v[108:109], v[28:29], v[2:3], v[104:105] op_sel:[0,0,1] op_sel_hi:[0,1,0]
	v_pk_fma_f32 v[2:3], v[28:29], v[2:3], v[104:105] op_sel:[0,0,1] op_sel_hi:[0,1,0] neg_lo:[0,0,1] neg_hi:[0,0,1]
	s_waitcnt lgkmcnt(1)
	v_pk_mul_f32 v[28:29], v[24:25], v[6:7] op_sel:[1,0]
	v_mov_b32_e32 v109, v3
	v_pk_fma_f32 v[104:105], v[24:25], v[6:7], v[28:29] op_sel:[0,0,1] op_sel_hi:[1,1,0]
	v_pk_fma_f32 v[6:7], v[24:25], v[6:7], v[28:29] op_sel:[0,0,1] op_sel_hi:[0,1,0] neg_lo:[0,0,1] neg_hi:[0,0,1]
	v_accvgpr_read_b32 v28, a84
	v_accvgpr_read_b32 v29, a85
	v_mov_b32_e32 v105, v7
	s_waitcnt lgkmcnt(0)
	v_pk_mul_f32 v[6:7], v[28:29], v[118:119] op_sel:[1,0]
	v_mov_b32_e32 v2, v108
	v_pk_fma_f32 v[24:25], v[28:29], v[118:119], v[6:7] op_sel:[0,0,1] op_sel_hi:[1,1,0]
	v_pk_fma_f32 v[6:7], v[28:29], v[118:119], v[6:7] op_sel:[0,0,1] op_sel_hi:[0,1,0] neg_lo:[0,0,1] neg_hi:[0,0,1]
	v_mov_b32_e32 v25, v7
	v_pk_add_f32 v[6:7], v[104:105], v[24:25]
	v_pk_add_f32 v[28:29], v[104:105], v[24:25] neg_lo:[0,1] neg_hi:[0,1]
	v_fmac_f32_e32 v3, -0.5, v7
	v_fmac_f32_e32 v2, -0.5, v6
	v_fmamk_f32 v7, v28, 0x3f5db3d7, v3
	v_fmamk_f32 v6, v29, 0xbf5db3d7, v2
	v_mul_f32_e32 v15, 0xbf5db3d7, v7
	v_mul_f32_e32 v19, 0.5, v7
	v_pk_add_f32 v[104:105], v[108:109], v[104:105]
	v_fmac_f32_e32 v3, 0xbf5db3d7, v28
	v_fmac_f32_e32 v15, 0.5, v6
	v_fmac_f32_e32 v19, 0x3f5db3d7, v6
	v_pk_add_f32 v[6:7], v[64:65], v[8:9]
	v_pk_add_f32 v[108:109], v[104:105], v[24:25]
	;; [unrolled: 1-line block ×3, first 2 shown]
	v_add_f32_e32 v110, v26, v15
	v_mov_b32_e32 v6, v3
	v_sub_f32_e32 v28, v26, v15
	ds_read2_b64 v[24:27], v240 offset1:96
	ds_read2_b64 v[122:125], v63 offset0:64 offset1:160
	ds_read2_b64 v[126:129], v79 offset0:128 offset1:224
	v_fmac_f32_e32 v2, 0x3f5db3d7, v29
	v_pk_mul_f32 v[6:7], v[6:7], s[2:3] op_sel_hi:[0,1]
	v_pk_fma_f32 v[104:105], v[2:3], s[6:7], v[6:7] op_sel_hi:[0,1,1] neg_lo:[0,0,1] neg_hi:[0,0,1]
	v_pk_mul_f32 v[2:3], v[20:21], v[0:1] op_sel:[1,0]
	v_add_f32_e32 v111, v115, v19
	v_pk_fma_f32 v[6:7], v[20:21], v[0:1], v[2:3] op_sel:[0,0,1] op_sel_hi:[0,1,0]
	v_pk_fma_f32 v[20:21], v[20:21], v[0:1], v[2:3] op_sel:[0,0,1] op_sel_hi:[0,1,0] neg_lo:[0,0,1] neg_hi:[0,0,1]
	v_accvgpr_read_b32 v0, a110
	s_waitcnt lgkmcnt(1)
	v_pk_mul_f32 v[0:1], v[0:1], v[124:125] op_sel_hi:[0,1]
	v_sub_f32_e32 v29, v115, v19
	v_pk_fma_f32 v[114:115], v[22:23], v[124:125], v[0:1] op_sel:[0,0,1] op_sel_hi:[1,1,0]
	v_pk_fma_f32 v[0:1], v[22:23], v[124:125], v[0:1] op_sel:[0,0,1] op_sel_hi:[0,1,0] neg_lo:[0,0,1] neg_hi:[0,0,1]
	v_mov_b32_e32 v115, v1
	v_pk_mul_f32 v[0:1], v[16:17], v[4:5] op_sel:[1,0]
	v_accvgpr_read_b32 v8, a86
	v_pk_fma_f32 v[2:3], v[16:17], v[4:5], v[0:1] op_sel:[0,0,1] op_sel_hi:[1,1,0]
	v_pk_fma_f32 v[0:1], v[16:17], v[4:5], v[0:1] op_sel:[0,0,1] op_sel_hi:[0,1,0] neg_lo:[0,0,1] neg_hi:[0,0,1]
	v_accvgpr_read_b32 v0, a114
	v_mov_b32_e32 v3, v1
	s_waitcnt lgkmcnt(0)
	v_pk_mul_f32 v[0:1], v[0:1], v[128:129] op_sel_hi:[0,1]
	v_pk_fma_f32 v[16:17], v[18:19], v[128:129], v[0:1] op_sel:[0,0,1] op_sel_hi:[1,1,0]
	v_pk_fma_f32 v[0:1], v[18:19], v[128:129], v[0:1] op_sel:[0,0,1] op_sel_hi:[0,1,0] neg_lo:[0,0,1] neg_hi:[0,0,1]
	v_accvgpr_read_b32 v9, a87
	v_mov_b32_e32 v17, v1
	v_pk_mul_f32 v[0:1], v[8:9], v[116:117] op_sel:[1,0]
	v_mov_b32_e32 v20, v6
	v_pk_fma_f32 v[4:5], v[8:9], v[116:117], v[0:1] op_sel:[0,0,1] op_sel_hi:[1,1,0]
	v_pk_fma_f32 v[0:1], v[8:9], v[116:117], v[0:1] op_sel:[0,0,1] op_sel_hi:[0,1,0] neg_lo:[0,0,1] neg_hi:[0,0,1]
	v_mov_b32_e32 v5, v1
	v_pk_add_f32 v[0:1], v[26:27], v[114:115]
	v_mov_b32_e32 v7, v21
	v_pk_add_f32 v[18:19], v[0:1], v[16:17]
	v_pk_add_f32 v[0:1], v[2:3], v[4:5]
	v_pk_add_f32 v[8:9], v[2:3], v[4:5] neg_lo:[0,1] neg_hi:[0,1]
	v_fmac_f32_e32 v20, -0.5, v0
	v_fmac_f32_e32 v21, -0.5, v1
	v_pk_mul_f32 v[0:1], v[182:183], v[90:91] op_sel:[1,0]
	v_pk_add_f32 v[2:3], v[6:7], v[2:3]
	v_pk_fma_f32 v[6:7], v[182:183], v[90:91], v[0:1] op_sel:[0,0,1] op_sel_hi:[0,1,0]
	v_pk_fma_f32 v[0:1], v[182:183], v[90:91], v[0:1] op_sel:[0,0,1] op_sel_hi:[0,1,0] neg_lo:[0,0,1] neg_hi:[0,0,1]
	v_accvgpr_read_b32 v0, a98
	v_pk_add_f32 v[22:23], v[2:3], v[4:5]
	v_pk_mul_f32 v[4:5], v[0:1], v[122:123] op_sel_hi:[0,1]
	v_pk_fma_f32 v[2:3], v[184:185], v[122:123], v[4:5] op_sel:[0,0,1] op_sel_hi:[1,1,0]
	v_pk_fma_f32 v[4:5], v[184:185], v[122:123], v[4:5] op_sel:[0,0,1] op_sel_hi:[0,1,0] neg_lo:[0,0,1] neg_hi:[0,0,1]
	v_mov_b32_e32 v3, v5
	v_pk_mul_f32 v[4:5], v[186:187], v[86:87] op_sel:[1,0]
	v_accvgpr_read_b32 v0, a108
	v_accvgpr_read_b32 v123, a93
	v_fmamk_f32 v118, v9, 0xbf5db3d7, v20
	v_fmac_f32_e32 v20, 0x3f5db3d7, v9
	v_fmamk_f32 v120, v8, 0x3f5db3d7, v21
	v_fmac_f32_e32 v21, 0xbf5db3d7, v8
	v_pk_fma_f32 v[8:9], v[186:187], v[86:87], v[4:5] op_sel:[0,0,1] op_sel_hi:[1,1,0]
	v_pk_fma_f32 v[4:5], v[186:187], v[86:87], v[4:5] op_sel:[0,0,1] op_sel_hi:[0,1,0] neg_lo:[0,0,1] neg_hi:[0,0,1]
	v_pk_mul_f32 v[86:87], v[0:1], v[126:127] op_sel_hi:[0,1]
	v_accvgpr_read_b32 v122, a92
	v_mov_b32_e32 v9, v5
	v_pk_fma_f32 v[4:5], v[188:189], v[126:127], v[86:87] op_sel:[0,0,1] op_sel_hi:[1,1,0]
	v_pk_fma_f32 v[86:87], v[188:189], v[126:127], v[86:87] op_sel:[0,0,1] op_sel_hi:[0,1,0] neg_lo:[0,0,1] neg_hi:[0,0,1]
	v_pk_mul_f32 v[90:91], v[122:123], v[82:83] op_sel:[1,0]
	v_mov_b32_e32 v5, v87
	v_pk_fma_f32 v[86:87], v[122:123], v[82:83], v[90:91] op_sel:[0,0,1] op_sel_hi:[1,1,0]
	v_pk_fma_f32 v[82:83], v[122:123], v[82:83], v[90:91] op_sel:[0,0,1] op_sel_hi:[0,1,0] neg_lo:[0,0,1] neg_hi:[0,0,1]
	v_mov_b32_e32 v87, v83
	v_pk_add_f32 v[90:91], v[8:9], v[86:87]
	v_mov_b32_e32 v0, v6
	v_mov_b32_e32 v7, v1
	v_fmac_f32_e32 v0, -0.5, v90
	v_pk_add_f32 v[122:123], v[8:9], v[86:87] neg_lo:[0,1] neg_hi:[0,1]
	v_fmac_f32_e32 v1, -0.5, v91
	v_pk_add_f32 v[82:83], v[24:25], v[2:3]
	v_fmamk_f32 v90, v123, 0xbf5db3d7, v0
	v_fmac_f32_e32 v0, 0x3f5db3d7, v123
	v_pk_add_f32 v[6:7], v[6:7], v[8:9]
	v_fmamk_f32 v8, v122, 0x3f5db3d7, v1
	v_fmac_f32_e32 v1, 0xbf5db3d7, v122
	v_pk_add_f32 v[122:123], v[2:3], v[4:5]
	v_pk_add_f32 v[2:3], v[2:3], v[4:5] neg_lo:[0,1] neg_hi:[0,1]
	v_pk_fma_f32 v[24:25], v[122:123], 0.5, v[24:25] op_sel_hi:[1,0,1] neg_lo:[1,0,0] neg_hi:[1,0,0]
	v_pk_mul_f32 v[2:3], v[2:3], s[2:3] op_sel_hi:[1,0]
	v_pk_mul_f32 v[8:9], v[8:9], s[2:3] op_sel_hi:[0,1]
	v_pk_add_f32 v[82:83], v[82:83], v[4:5]
	v_pk_add_f32 v[4:5], v[24:25], v[2:3] op_sel:[0,1] op_sel_hi:[1,0] neg_lo:[0,1] neg_hi:[0,1]
	v_pk_add_f32 v[2:3], v[24:25], v[2:3] op_sel:[0,1] op_sel_hi:[1,0]
	v_pk_fma_f32 v[122:123], v[90:91], s[4:5], v[8:9] neg_lo:[0,0,1] neg_hi:[0,0,1]
	v_pk_fma_f32 v[8:9], v[90:91], s[4:5], v[8:9] op_sel_hi:[0,1,1]
	v_pk_add_f32 v[6:7], v[6:7], v[86:87]
	v_mov_b32_e32 v24, v4
	v_mov_b32_e32 v25, v3
	;; [unrolled: 1-line block ×3, first 2 shown]
	v_pk_add_f32 v[86:87], v[82:83], v[6:7]
	v_pk_add_f32 v[8:9], v[24:25], v[122:123]
	v_accvgpr_read_b32 v15, a75
	v_mov_b32_e32 v4, v1
	s_barrier
	ds_write2_b64 v15, v[86:87], v[8:9] offset1:10
	v_pk_mul_f32 v[8:9], v[4:5], s[2:3] op_sel_hi:[0,1]
	v_pk_fma_f32 v[0:1], v[0:1], s[6:7], v[8:9] op_sel_hi:[0,1,1] neg_lo:[0,0,1] neg_hi:[0,0,1]
	v_mov_b32_e32 v3, v5
	v_pk_add_f32 v[4:5], v[2:3], v[0:1]
	v_pk_add_f32 v[6:7], v[82:83], v[6:7] neg_lo:[0,1] neg_hi:[0,1]
	v_accvgpr_read_b32 v8, a75
	ds_write2_b64 v8, v[4:5], v[6:7] offset0:20 offset1:30
	v_pk_add_f32 v[4:5], v[24:25], v[122:123] neg_lo:[0,1] neg_hi:[0,1]
	v_pk_add_f32 v[0:1], v[2:3], v[0:1] neg_lo:[0,1] neg_hi:[0,1]
	ds_write2_b64 v8, v[4:5], v[0:1] offset0:40 offset1:50
	v_pk_add_f32 v[0:1], v[114:115], v[16:17]
	v_pk_add_f32 v[2:3], v[114:115], v[16:17] neg_lo:[0,1] neg_hi:[0,1]
	v_mov_b32_e32 v119, v63
	v_pk_fma_f32 v[0:1], v[0:1], 0.5, v[26:27] op_sel_hi:[1,0,1] neg_lo:[1,0,0] neg_hi:[1,0,0]
	v_pk_mul_f32 v[2:3], v[2:3], s[2:3] op_sel_hi:[1,0]
	v_pk_mul_f32 v[6:7], v[120:121], s[2:3] op_sel_hi:[0,1]
	v_pk_add_f32 v[4:5], v[0:1], v[2:3] op_sel:[0,1] op_sel_hi:[1,0] neg_lo:[0,1] neg_hi:[0,1]
	v_pk_add_f32 v[0:1], v[0:1], v[2:3] op_sel:[0,1] op_sel_hi:[1,0]
	v_pk_fma_f32 v[8:9], v[118:119], s[4:5], v[6:7] neg_lo:[0,0,1] neg_hi:[0,0,1]
	v_pk_fma_f32 v[6:7], v[118:119], s[4:5], v[6:7] op_sel_hi:[0,1,1]
	v_mov_b32_e32 v2, v4
	v_mov_b32_e32 v3, v1
	;; [unrolled: 1-line block ×3, first 2 shown]
	v_pk_add_f32 v[116:117], v[18:19], v[22:23]
	v_pk_add_f32 v[6:7], v[2:3], v[8:9]
	v_accvgpr_read_b32 v15, a70
	v_mov_b32_e32 v4, v21
	ds_write2_b64 v15, v[116:117], v[6:7] offset1:10
	v_pk_mul_f32 v[6:7], v[4:5], s[2:3] op_sel_hi:[0,1]
	v_pk_fma_f32 v[6:7], v[20:21], s[6:7], v[6:7] op_sel_hi:[0,1,1] neg_lo:[0,0,1] neg_hi:[0,0,1]
	v_mov_b32_e32 v1, v5
	v_pk_add_f32 v[4:5], v[0:1], v[6:7]
	v_pk_add_f32 v[2:3], v[2:3], v[8:9] neg_lo:[0,1] neg_hi:[0,1]
	v_pk_add_f32 v[0:1], v[0:1], v[6:7] neg_lo:[0,1] neg_hi:[0,1]
	;; [unrolled: 1-line block ×3, first 2 shown]
	ds_write2_b64 v15, v[2:3], v[0:1] offset0:40 offset1:50
	v_pk_add_f32 v[0:1], v[112:113], v[108:109]
	v_accvgpr_read_b32 v2, a81
	v_pk_add_f32 v[106:107], v[112:113], v[108:109] neg_lo:[0,1] neg_hi:[0,1]
	ds_write2_b64 v15, v[4:5], v[16:17] offset0:20 offset1:30
	ds_write2_b64 v2, v[0:1], v[110:111] offset1:10
	v_pk_add_f32 v[0:1], v[30:31], v[104:105]
	v_pk_add_f32 v[64:65], v[30:31], v[104:105] neg_lo:[0,1] neg_hi:[0,1]
	ds_write2_b64 v2, v[0:1], v[106:107] offset0:20 offset1:30
	ds_write2_b64 v2, v[28:29], v[64:65] offset0:40 offset1:50
	v_pk_add_f32 v[0:1], v[102:103], v[92:93]
	v_accvgpr_read_b32 v2, a78
	ds_write2_b64 v2, v[0:1], v[100:101] offset1:10
	v_pk_add_f32 v[0:1], v[50:51], v[54:55]
	ds_write2_b64 v2, v[0:1], v[66:67] offset0:20 offset1:30
	ds_write2_b64 v2, v[48:49], v[52:53] offset0:40 offset1:50
	v_pk_add_f32 v[0:1], v[98:99], v[94:95]
	v_accvgpr_read_b32 v2, a74
	v_pk_add_f32 v[88:89], v[98:99], v[94:95] neg_lo:[0,1] neg_hi:[0,1]
	ds_write2_b64 v2, v[0:1], v[96:97] offset1:10
	v_pk_add_f32 v[0:1], v[70:71], v[84:85]
	v_pk_add_f32 v[80:81], v[70:71], v[84:85] neg_lo:[0,1] neg_hi:[0,1]
	ds_write2_b64 v2, v[0:1], v[88:89] offset0:20 offset1:30
	ds_write2_b64 v2, v[68:69], v[80:81] offset0:40 offset1:50
	s_waitcnt lgkmcnt(0)
	s_barrier
	ds_read2_b64 v[16:19], v241 offset0:128 offset1:224
	ds_read2_b64 v[4:7], v43 offset0:64 offset1:160
	ds_read2_b64 v[0:3], v181 offset1:96
	ds_read2_b64 v[64:67], v201 offset1:96
	ds_read2_b64 v[68:71], v75 offset0:64 offset1:160
	v_accvgpr_read_b32 v8, a118
	ds_read2_b64 v[24:27], v251 offset0:128 offset1:224
	s_waitcnt lgkmcnt(4)
	v_pk_mul_f32 v[8:9], v[8:9], v[4:5] op_sel_hi:[0,1]
	v_pk_fma_f32 v[20:21], v[78:79], v[4:5], v[8:9] op_sel:[0,0,1] op_sel_hi:[1,1,0]
	v_pk_fma_f32 v[4:5], v[78:79], v[4:5], v[8:9] op_sel:[0,0,1] op_sel_hi:[0,1,0] neg_lo:[0,0,1] neg_hi:[0,0,1]
	v_accvgpr_read_b32 v4, a122
	v_mov_b32_e32 v21, v5
	s_waitcnt lgkmcnt(3)
	v_pk_mul_f32 v[4:5], v[4:5], v[0:1] op_sel_hi:[0,1]
	s_waitcnt lgkmcnt(1)
	v_pk_mul_f32 v[48:49], v[72:73], v[70:71] op_sel:[1,0]
	v_accvgpr_read_b32 v54, a100
	v_pk_fma_f32 v[8:9], v[74:75], v[0:1], v[4:5] op_sel:[0,0,1] op_sel_hi:[1,1,0]
	v_pk_fma_f32 v[0:1], v[74:75], v[0:1], v[4:5] op_sel:[0,0,1] op_sel_hi:[0,1,0] neg_lo:[0,0,1] neg_hi:[0,0,1]
	v_pk_fma_f32 v[50:51], v[72:73], v[70:71], v[48:49] op_sel:[0,0,1] op_sel_hi:[1,1,0]
	v_pk_fma_f32 v[48:49], v[72:73], v[70:71], v[48:49] op_sel:[0,0,1] op_sel_hi:[0,1,0] neg_lo:[0,0,1] neg_hi:[0,0,1]
	v_accvgpr_read_b32 v55, a101
	v_mov_b32_e32 v9, v1
	v_mov_b32_e32 v51, v49
	s_waitcnt lgkmcnt(0)
	v_pk_mul_f32 v[48:49], v[54:55], v[26:27] op_sel:[1,0]
	v_pk_add_f32 v[0:1], v[20:21], v[8:9]
	v_pk_add_f32 v[4:5], v[20:21], v[8:9] neg_lo:[0,1] neg_hi:[0,1]
	v_pk_fma_f32 v[52:53], v[54:55], v[26:27], v[48:49] op_sel:[0,0,1] op_sel_hi:[1,1,0]
	v_pk_fma_f32 v[26:27], v[54:55], v[26:27], v[48:49] op_sel:[0,0,1] op_sel_hi:[0,1,0] neg_lo:[0,0,1] neg_hi:[0,0,1]
	v_pk_fma_f32 v[0:1], v[0:1], 0.5, v[16:17] op_sel_hi:[1,0,1] neg_lo:[1,0,0] neg_hi:[1,0,0]
	v_pk_mul_f32 v[4:5], v[4:5], s[2:3] op_sel_hi:[1,0]
	v_pk_mul_f32 v[28:29], v[76:77], v[66:67] op_sel:[1,0]
	v_mov_b32_e32 v53, v27
	v_pk_add_f32 v[22:23], v[0:1], v[4:5] op_sel:[0,1] op_sel_hi:[1,0] neg_lo:[0,1] neg_hi:[0,1]
	v_pk_add_f32 v[4:5], v[4:5], v[0:1] op_sel:[1,0] op_sel_hi:[0,1]
	v_pk_fma_f32 v[30:31], v[76:77], v[66:67], v[28:29] op_sel:[0,0,1] op_sel_hi:[0,1,0]
	v_pk_fma_f32 v[28:29], v[76:77], v[66:67], v[28:29] op_sel:[0,0,1] op_sel_hi:[0,1,0] neg_lo:[0,0,1] neg_hi:[0,0,1]
	v_pk_add_f32 v[48:49], v[50:51], v[52:53]
	v_mov_b32_e32 v0, v4
	v_mov_b32_e32 v31, v29
	;; [unrolled: 1-line block ×3, first 2 shown]
	v_pk_add_f32 v[54:55], v[50:51], v[52:53] neg_lo:[0,1] neg_hi:[0,1]
	v_fmac_f32_e32 v29, -0.5, v49
	v_mov_b32_e32 v1, v23
	v_fmac_f32_e32 v4, -0.5, v48
	v_fmamk_f32 v23, v54, 0x3f5db3d7, v29
	v_fmac_f32_e32 v29, 0xbf5db3d7, v54
	v_pk_add_f32 v[16:17], v[16:17], v[20:21]
	v_fmamk_f32 v15, v55, 0xbf5db3d7, v4
	v_pk_add_f32 v[26:27], v[30:31], v[50:51]
	v_mul_f32_e32 v30, 0xbf5db3d7, v23
	v_mul_f32_e32 v23, 0.5, v23
	v_pk_add_f32 v[50:51], v[16:17], v[8:9]
	v_mov_b32_e32 v8, v29
	v_fmac_f32_e32 v4, 0x3f5db3d7, v55
	v_fmac_f32_e32 v30, 0.5, v15
	v_fmac_f32_e32 v23, 0x3f5db3d7, v15
	v_pk_mul_f32 v[8:9], v[8:9], s[2:3] op_sel_hi:[0,1]
	v_mov_b32_e32 v99, v75
	v_add_f32_e32 v48, v22, v30
	v_pk_fma_f32 v[28:29], v[4:5], s[6:7], v[8:9] op_sel_hi:[0,1,1] neg_lo:[0,0,1] neg_hi:[0,0,1]
	v_add_f32_e32 v49, v5, v23
	v_sub_f32_e32 v4, v22, v30
	v_sub_f32_e32 v5, v5, v23
	ds_read2_b64 v[20:23], v35 offset0:64 offset1:160
	ds_read2_b64 v[70:73], v189 offset0:128 offset1:224
	ds_read2_b64 v[74:77], v59 offset0:64 offset1:160
	v_accvgpr_read_b32 v8, a132
	v_mov_b32_e32 v97, v59
	v_pk_add_f32 v[26:27], v[26:27], v[52:53]
	s_waitcnt lgkmcnt(1)
	v_pk_mul_f32 v[8:9], v[8:9], v[72:73] op_sel_hi:[0,1]
	v_pk_fma_f32 v[54:55], v[62:63], v[72:73], v[8:9] op_sel:[0,0,1] op_sel_hi:[1,1,0]
	v_pk_fma_f32 v[8:9], v[62:63], v[72:73], v[8:9] op_sel:[0,0,1] op_sel_hi:[0,1,0] neg_lo:[0,0,1] neg_hi:[0,0,1]
	v_accvgpr_read_b32 v8, a140
	v_mov_b32_e32 v55, v9
	s_waitcnt lgkmcnt(0)
	v_pk_mul_f32 v[8:9], v[8:9], v[76:77] op_sel_hi:[0,1]
	v_pk_fma_f32 v[62:63], v[58:59], v[76:77], v[8:9] op_sel:[0,0,1] op_sel_hi:[1,1,0]
	v_pk_fma_f32 v[8:9], v[58:59], v[76:77], v[8:9] op_sel:[0,0,1] op_sel_hi:[0,1,0] neg_lo:[0,0,1] neg_hi:[0,0,1]
	v_pk_mul_f32 v[58:59], v[60:61], v[64:65] op_sel:[1,0]
	v_mov_b32_e32 v63, v9
	v_pk_fma_f32 v[72:73], v[60:61], v[64:65], v[58:59] op_sel:[0,0,1] op_sel_hi:[0,1,0]
	v_pk_fma_f32 v[58:59], v[60:61], v[64:65], v[58:59] op_sel:[0,0,1] op_sel_hi:[0,1,0] neg_lo:[0,0,1] neg_hi:[0,0,1]
	v_pk_mul_f32 v[60:61], v[56:57], v[68:69] op_sel:[1,0]
	v_pk_add_f32 v[8:9], v[54:55], v[62:63]
	v_pk_fma_f32 v[64:65], v[56:57], v[68:69], v[60:61] op_sel:[0,0,1] op_sel_hi:[1,1,0]
	v_pk_fma_f32 v[56:57], v[56:57], v[68:69], v[60:61] op_sel:[0,0,1] op_sel_hi:[0,1,0] neg_lo:[0,0,1] neg_hi:[0,0,1]
	v_accvgpr_read_b32 v68, a102
	v_accvgpr_read_b32 v69, a103
	v_mov_b32_e32 v65, v57
	v_pk_mul_f32 v[56:57], v[68:69], v[24:25] op_sel:[1,0]
	v_pk_add_f32 v[52:53], v[54:55], v[62:63] neg_lo:[0,1] neg_hi:[0,1]
	v_pk_fma_f32 v[60:61], v[68:69], v[24:25], v[56:57] op_sel:[0,0,1] op_sel_hi:[1,1,0]
	v_pk_fma_f32 v[24:25], v[68:69], v[24:25], v[56:57] op_sel:[0,0,1] op_sel_hi:[0,1,0] neg_lo:[0,0,1] neg_hi:[0,0,1]
	v_pk_fma_f32 v[8:9], v[8:9], 0.5, v[22:23] op_sel_hi:[1,0,1] neg_lo:[1,0,0] neg_hi:[1,0,0]
	v_pk_mul_f32 v[52:53], v[52:53], s[2:3] op_sel_hi:[1,0]
	v_mov_b32_e32 v61, v25
	v_pk_add_f32 v[66:67], v[8:9], v[52:53] op_sel:[0,1] op_sel_hi:[1,0] neg_lo:[0,1] neg_hi:[0,1]
	v_pk_add_f32 v[8:9], v[52:53], v[8:9] op_sel:[1,0] op_sel_hi:[0,1]
	v_pk_add_f32 v[24:25], v[64:65], v[60:61]
	v_mov_b32_e32 v52, v8
	v_mov_b32_e32 v73, v59
	;; [unrolled: 1-line block ×3, first 2 shown]
	v_pk_add_f32 v[68:69], v[64:65], v[60:61] neg_lo:[0,1] neg_hi:[0,1]
	v_fmac_f32_e32 v59, -0.5, v25
	v_fmac_f32_e32 v8, -0.5, v24
	v_fmamk_f32 v24, v68, 0x3f5db3d7, v59
	v_fmac_f32_e32 v59, 0xbf5db3d7, v68
	v_pk_add_f32 v[22:23], v[22:23], v[54:55]
	v_pk_add_f32 v[56:57], v[72:73], v[64:65]
	;; [unrolled: 1-line block ×3, first 2 shown]
	v_mov_b32_e32 v22, v59
	v_mov_b32_e32 v95, v35
	v_fmamk_f32 v15, v69, 0xbf5db3d7, v8
	v_fmac_f32_e32 v8, 0x3f5db3d7, v69
	v_mul_f32_e32 v25, 0xbf5db3d7, v24
	v_mul_f32_e32 v35, 0.5, v24
	v_pk_mul_f32 v[22:23], v[22:23], s[2:3] op_sel_hi:[0,1]
	v_fmac_f32_e32 v25, 0.5, v15
	v_fmac_f32_e32 v35, 0x3f5db3d7, v15
	v_pk_fma_f32 v[58:59], v[8:9], s[6:7], v[22:23] op_sel_hi:[0,1,1] neg_lo:[0,0,1] neg_hi:[0,0,1]
	v_accvgpr_read_b32 v8, a134
	v_add_f32_e32 v62, v66, v25
	v_add_f32_e32 v63, v9, v35
	v_sub_f32_e32 v24, v66, v25
	v_sub_f32_e32 v25, v9, v35
	v_pk_mul_f32 v[8:9], v[8:9], v[70:71] op_sel_hi:[0,1]
	v_pk_fma_f32 v[22:23], v[46:47], v[70:71], v[8:9] op_sel:[0,0,1] op_sel_hi:[1,1,0]
	v_pk_fma_f32 v[8:9], v[46:47], v[70:71], v[8:9] op_sel:[0,0,1] op_sel_hi:[0,1,0] neg_lo:[0,0,1] neg_hi:[0,0,1]
	v_accvgpr_read_b32 v8, a142
	v_mov_b32_e32 v23, v9
	v_pk_mul_f32 v[8:9], v[8:9], v[74:75] op_sel_hi:[0,1]
	v_pk_fma_f32 v[46:47], v[42:43], v[74:75], v[8:9] op_sel:[0,0,1] op_sel_hi:[1,1,0]
	v_pk_fma_f32 v[8:9], v[42:43], v[74:75], v[8:9] op_sel:[0,0,1] op_sel_hi:[0,1,0] neg_lo:[0,0,1] neg_hi:[0,0,1]
	ds_read2_b64 v[74:77], v121 offset0:64 offset1:160
	ds_read2_b64 v[80:83], v185 offset1:96
	ds_read2_b64 v[84:87], v39 offset0:64 offset1:160
	v_mov_b32_e32 v47, v9
	v_mov_b32_e32 v96, v43
	s_waitcnt lgkmcnt(2)
	v_pk_mul_f32 v[68:69], v[44:45], v[76:77] op_sel:[1,0]
	v_pk_add_f32 v[8:9], v[22:23], v[46:47]
	v_pk_fma_f32 v[70:71], v[44:45], v[76:77], v[68:69] op_sel:[0,0,1] op_sel_hi:[0,1,0]
	v_pk_fma_f32 v[44:45], v[44:45], v[76:77], v[68:69] op_sel:[0,0,1] op_sel_hi:[0,1,0] neg_lo:[0,0,1] neg_hi:[0,0,1]
	s_waitcnt lgkmcnt(1)
	v_pk_mul_f32 v[68:69], v[40:41], v[82:83] op_sel:[1,0]
	v_accvgpr_read_b32 v76, a104
	v_pk_fma_f32 v[72:73], v[40:41], v[82:83], v[68:69] op_sel:[0,0,1] op_sel_hi:[1,1,0]
	v_pk_fma_f32 v[40:41], v[40:41], v[82:83], v[68:69] op_sel:[0,0,1] op_sel_hi:[0,1,0] neg_lo:[0,0,1] neg_hi:[0,0,1]
	v_accvgpr_read_b32 v77, a105
	v_mov_b32_e32 v73, v41
	s_waitcnt lgkmcnt(0)
	v_pk_mul_f32 v[40:41], v[76:77], v[86:87] op_sel:[1,0]
	v_pk_add_f32 v[42:43], v[22:23], v[46:47] neg_lo:[0,1] neg_hi:[0,1]
	v_pk_fma_f32 v[68:69], v[76:77], v[86:87], v[40:41] op_sel:[0,0,1] op_sel_hi:[1,1,0]
	v_pk_fma_f32 v[40:41], v[76:77], v[86:87], v[40:41] op_sel:[0,0,1] op_sel_hi:[0,1,0] neg_lo:[0,0,1] neg_hi:[0,0,1]
	v_mov_b32_e32 v69, v41
	v_pk_fma_f32 v[8:9], v[8:9], 0.5, v[20:21] op_sel_hi:[1,0,1] neg_lo:[1,0,0] neg_hi:[1,0,0]
	v_pk_mul_f32 v[42:43], v[42:43], s[2:3] op_sel_hi:[1,0]
	v_pk_add_f32 v[40:41], v[72:73], v[68:69]
	v_mov_b32_e32 v53, v67
	v_pk_add_f32 v[66:67], v[8:9], v[42:43] op_sel:[0,1] op_sel_hi:[1,0] neg_lo:[0,1] neg_hi:[0,1]
	v_pk_add_f32 v[8:9], v[42:43], v[8:9] op_sel:[1,0] op_sel_hi:[0,1]
	v_mov_b32_e32 v71, v45
	v_pk_add_f32 v[76:77], v[72:73], v[68:69] neg_lo:[0,1] neg_hi:[0,1]
	v_fmac_f32_e32 v45, -0.5, v41
	v_mov_b32_e32 v42, v8
	v_mov_b32_e32 v8, v70
	v_fmamk_f32 v35, v76, 0x3f5db3d7, v45
	v_fmac_f32_e32 v45, 0xbf5db3d7, v76
	v_pk_add_f32 v[20:21], v[20:21], v[22:23]
	v_fmac_f32_e32 v8, -0.5, v40
	v_pk_add_f32 v[70:71], v[70:71], v[72:73]
	v_pk_add_f32 v[72:73], v[20:21], v[46:47]
	v_mov_b32_e32 v20, v45
	v_fmamk_f32 v15, v77, 0xbf5db3d7, v8
	v_fmac_f32_e32 v8, 0x3f5db3d7, v77
	v_pk_mul_f32 v[20:21], v[20:21], s[2:3] op_sel_hi:[0,1]
	v_mov_b32_e32 v94, v39
	v_mul_f32_e32 v39, 0xbf5db3d7, v35
	v_mul_f32_e32 v35, 0.5, v35
	v_pk_fma_f32 v[46:47], v[8:9], s[6:7], v[20:21] op_sel_hi:[0,1,1] neg_lo:[0,0,1] neg_hi:[0,0,1]
	ds_read2_b64 v[20:23], v240 offset1:96
	ds_read2_b64 v[86:89], v119 offset0:64 offset1:160
	ds_read2_b64 v[90:93], v79 offset0:128 offset1:224
	v_fmac_f32_e32 v35, 0x3f5db3d7, v15
	v_pk_add_f32 v[68:69], v[70:71], v[68:69]
	v_add_f32_e32 v71, v9, v35
	v_sub_f32_e32 v41, v9, v35
	v_pk_mul_f32 v[8:9], v[36:37], v[74:75] op_sel:[1,0]
	v_fmac_f32_e32 v39, 0.5, v15
	v_pk_fma_f32 v[76:77], v[36:37], v[74:75], v[8:9] op_sel:[0,0,1] op_sel_hi:[0,1,0]
	v_pk_fma_f32 v[36:37], v[36:37], v[74:75], v[8:9] op_sel:[0,0,1] op_sel_hi:[0,1,0] neg_lo:[0,0,1] neg_hi:[0,0,1]
	v_accvgpr_read_b32 v8, a136
	s_waitcnt lgkmcnt(1)
	v_pk_mul_f32 v[8:9], v[8:9], v[88:89] op_sel_hi:[0,1]
	v_pk_fma_f32 v[74:75], v[38:39], v[88:89], v[8:9] op_sel:[0,0,1] op_sel_hi:[1,1,0]
	v_pk_fma_f32 v[8:9], v[38:39], v[88:89], v[8:9] op_sel:[0,0,1] op_sel_hi:[0,1,0] neg_lo:[0,0,1] neg_hi:[0,0,1]
	v_mov_b32_e32 v75, v9
	v_pk_mul_f32 v[8:9], v[32:33], v[80:81] op_sel:[1,0]
	v_add_f32_e32 v70, v66, v39
	v_sub_f32_e32 v40, v66, v39
	v_pk_fma_f32 v[38:39], v[32:33], v[80:81], v[8:9] op_sel:[0,0,1] op_sel_hi:[1,1,0]
	v_pk_fma_f32 v[8:9], v[32:33], v[80:81], v[8:9] op_sel:[0,0,1] op_sel_hi:[0,1,0] neg_lo:[0,0,1] neg_hi:[0,0,1]
	v_accvgpr_read_b32 v8, a144
	v_mov_b32_e32 v39, v9
	s_waitcnt lgkmcnt(0)
	v_pk_mul_f32 v[8:9], v[8:9], v[92:93] op_sel_hi:[0,1]
	v_pk_fma_f32 v[32:33], v[34:35], v[92:93], v[8:9] op_sel:[0,0,1] op_sel_hi:[1,1,0]
	v_pk_fma_f32 v[8:9], v[34:35], v[92:93], v[8:9] op_sel:[0,0,1] op_sel_hi:[0,1,0] neg_lo:[0,0,1] neg_hi:[0,0,1]
	v_accvgpr_read_b32 v34, a124
	v_accvgpr_read_b32 v35, a125
	v_mov_b32_e32 v33, v9
	v_pk_mul_f32 v[8:9], v[34:35], v[84:85] op_sel:[1,0]
	v_mov_b32_e32 v77, v37
	v_pk_fma_f32 v[80:81], v[34:35], v[84:85], v[8:9] op_sel:[0,0,1] op_sel_hi:[1,1,0]
	v_pk_fma_f32 v[8:9], v[34:35], v[84:85], v[8:9] op_sel:[0,0,1] op_sel_hi:[0,1,0] neg_lo:[0,0,1] neg_hi:[0,0,1]
	v_mov_b32_e32 v81, v9
	v_pk_add_f32 v[8:9], v[22:23], v[74:75]
	v_mov_b32_e32 v36, v76
	v_pk_add_f32 v[34:35], v[8:9], v[32:33]
	v_pk_add_f32 v[8:9], v[38:39], v[80:81]
	v_pk_add_f32 v[82:83], v[38:39], v[80:81] neg_lo:[0,1] neg_hi:[0,1]
	v_fmac_f32_e32 v36, -0.5, v8
	v_pk_add_f32 v[38:39], v[76:77], v[38:39]
	v_fmac_f32_e32 v37, -0.5, v9
	v_pk_mul_f32 v[8:9], v[12:13], v[18:19] op_sel:[1,0]
	v_fmamk_f32 v78, v83, 0xbf5db3d7, v36
	v_fmac_f32_e32 v36, 0x3f5db3d7, v83
	v_pk_add_f32 v[38:39], v[38:39], v[80:81]
	v_fmamk_f32 v80, v82, 0x3f5db3d7, v37
	v_fmac_f32_e32 v37, 0xbf5db3d7, v82
	v_pk_fma_f32 v[82:83], v[12:13], v[18:19], v[8:9] op_sel:[0,0,1] op_sel_hi:[0,1,0]
	v_pk_fma_f32 v[8:9], v[12:13], v[18:19], v[8:9] op_sel:[0,0,1] op_sel_hi:[0,1,0] neg_lo:[0,0,1] neg_hi:[0,0,1]
	v_accvgpr_read_b32 v8, a138
	v_pk_mul_f32 v[18:19], v[8:9], v[86:87] op_sel_hi:[0,1]
	v_pk_fma_f32 v[12:13], v[14:15], v[86:87], v[18:19] op_sel:[0,0,1] op_sel_hi:[1,1,0]
	v_pk_fma_f32 v[14:15], v[14:15], v[86:87], v[18:19] op_sel:[0,0,1] op_sel_hi:[0,1,0] neg_lo:[0,0,1] neg_hi:[0,0,1]
	v_pk_mul_f32 v[18:19], v[248:249], v[6:7] op_sel:[1,0]
	v_mov_b32_e32 v13, v15
	v_pk_fma_f32 v[14:15], v[248:249], v[6:7], v[18:19] op_sel:[0,0,1] op_sel_hi:[1,1,0]
	v_pk_fma_f32 v[6:7], v[248:249], v[6:7], v[18:19] op_sel:[0,0,1] op_sel_hi:[0,1,0] neg_lo:[0,0,1] neg_hi:[0,0,1]
	v_accvgpr_read_b32 v6, a146
	v_pk_mul_f32 v[18:19], v[6:7], v[90:91] op_sel_hi:[0,1]
	v_accvgpr_read_b32 v86, a130
	v_mov_b32_e32 v15, v7
	v_pk_fma_f32 v[6:7], v[250:251], v[90:91], v[18:19] op_sel:[0,0,1] op_sel_hi:[1,1,0]
	v_pk_fma_f32 v[18:19], v[250:251], v[90:91], v[18:19] op_sel:[0,0,1] op_sel_hi:[0,1,0] neg_lo:[0,0,1] neg_hi:[0,0,1]
	v_accvgpr_read_b32 v87, a131
	v_mov_b32_e32 v7, v19
	v_pk_mul_f32 v[18:19], v[86:87], v[2:3] op_sel:[1,0]
	v_mov_b32_e32 v8, v82
	v_pk_fma_f32 v[84:85], v[86:87], v[2:3], v[18:19] op_sel:[0,0,1] op_sel_hi:[1,1,0]
	v_pk_fma_f32 v[2:3], v[86:87], v[2:3], v[18:19] op_sel:[0,0,1] op_sel_hi:[0,1,0] neg_lo:[0,0,1] neg_hi:[0,0,1]
	v_mov_b32_e32 v85, v3
	v_pk_add_f32 v[18:19], v[14:15], v[84:85]
	v_mov_b32_e32 v83, v9
	v_pk_add_f32 v[2:3], v[20:21], v[12:13]
	v_fmac_f32_e32 v8, -0.5, v18
	v_pk_add_f32 v[86:87], v[14:15], v[84:85] neg_lo:[0,1] neg_hi:[0,1]
	v_fmac_f32_e32 v9, -0.5, v19
	v_pk_add_f32 v[2:3], v[2:3], v[6:7]
	v_fmamk_f32 v18, v87, 0xbf5db3d7, v8
	v_fmac_f32_e32 v8, 0x3f5db3d7, v87
	v_pk_add_f32 v[14:15], v[82:83], v[14:15]
	v_fmamk_f32 v82, v86, 0x3f5db3d7, v9
	v_fmac_f32_e32 v9, 0xbf5db3d7, v86
	v_pk_add_f32 v[86:87], v[12:13], v[6:7]
	v_pk_add_f32 v[6:7], v[12:13], v[6:7] neg_lo:[0,1] neg_hi:[0,1]
	v_pk_fma_f32 v[20:21], v[86:87], 0.5, v[20:21] op_sel_hi:[1,0,1] neg_lo:[1,0,0] neg_hi:[1,0,0]
	v_pk_mul_f32 v[6:7], v[6:7], s[2:3] op_sel_hi:[1,0]
	v_pk_mul_f32 v[82:83], v[82:83], s[2:3] op_sel_hi:[0,1]
	v_pk_add_f32 v[12:13], v[20:21], v[6:7] op_sel:[0,1] op_sel_hi:[1,0] neg_lo:[0,1] neg_hi:[0,1]
	v_pk_add_f32 v[6:7], v[20:21], v[6:7] op_sel:[0,1] op_sel_hi:[1,0]
	v_pk_fma_f32 v[86:87], v[18:19], s[4:5], v[82:83] neg_lo:[0,0,1] neg_hi:[0,0,1]
	v_pk_fma_f32 v[18:19], v[18:19], s[4:5], v[82:83] op_sel_hi:[0,1,1]
	v_pk_add_f32 v[14:15], v[14:15], v[84:85]
	v_mov_b32_e32 v20, v12
	v_mov_b32_e32 v21, v7
	;; [unrolled: 1-line block ×3, first 2 shown]
	v_pk_add_f32 v[84:85], v[2:3], v[14:15]
	v_pk_add_f32 v[18:19], v[20:21], v[86:87]
	v_accvgpr_read_b32 v81, a89
	v_mov_b32_e32 v12, v9
	s_barrier
	ds_write2_b64 v81, v[84:85], v[18:19] offset1:60
	v_pk_mul_f32 v[18:19], v[12:13], s[2:3] op_sel_hi:[0,1]
	v_pk_fma_f32 v[8:9], v[8:9], s[6:7], v[18:19] op_sel_hi:[0,1,1] neg_lo:[0,0,1] neg_hi:[0,0,1]
	v_mov_b32_e32 v7, v13
	v_pk_add_f32 v[12:13], v[6:7], v[8:9]
	v_pk_add_f32 v[2:3], v[2:3], v[14:15] neg_lo:[0,1] neg_hi:[0,1]
	ds_write2_b64 v81, v[12:13], v[2:3] offset0:120 offset1:180
	v_pk_add_f32 v[2:3], v[20:21], v[86:87] neg_lo:[0,1] neg_hi:[0,1]
	v_pk_add_f32 v[6:7], v[6:7], v[8:9] neg_lo:[0,1] neg_hi:[0,1]
	v_accvgpr_read_b32 v8, a88
	ds_write2_b64 v8, v[2:3], v[6:7] offset0:112 offset1:172
	v_pk_add_f32 v[2:3], v[74:75], v[32:33]
	v_pk_add_f32 v[6:7], v[74:75], v[32:33] neg_lo:[0,1] neg_hi:[0,1]
	v_pk_fma_f32 v[2:3], v[2:3], 0.5, v[22:23] op_sel_hi:[1,0,1] neg_lo:[1,0,0] neg_hi:[1,0,0]
	v_pk_mul_f32 v[6:7], v[6:7], s[2:3] op_sel_hi:[1,0]
	v_pk_mul_f32 v[12:13], v[80:81], s[2:3] op_sel_hi:[0,1]
	v_pk_add_f32 v[8:9], v[2:3], v[6:7] op_sel:[0,1] op_sel_hi:[1,0] neg_lo:[0,1] neg_hi:[0,1]
	v_pk_add_f32 v[2:3], v[2:3], v[6:7] op_sel:[0,1] op_sel_hi:[1,0]
	v_pk_fma_f32 v[14:15], v[78:79], s[4:5], v[12:13] neg_lo:[0,0,1] neg_hi:[0,0,1]
	v_pk_fma_f32 v[12:13], v[78:79], s[4:5], v[12:13] op_sel_hi:[0,1,1]
	v_mov_b32_e32 v6, v8
	v_mov_b32_e32 v7, v3
	;; [unrolled: 1-line block ×3, first 2 shown]
	v_pk_add_f32 v[76:77], v[34:35], v[38:39]
	v_pk_add_f32 v[12:13], v[6:7], v[14:15]
	v_accvgpr_read_b32 v20, a96
	v_mov_b32_e32 v8, v37
	ds_write2_b64 v20, v[76:77], v[12:13] offset1:60
	v_pk_mul_f32 v[12:13], v[8:9], s[2:3] op_sel_hi:[0,1]
	v_pk_fma_f32 v[12:13], v[36:37], s[6:7], v[12:13] op_sel_hi:[0,1,1] neg_lo:[0,0,1] neg_hi:[0,0,1]
	v_mov_b32_e32 v3, v9
	v_pk_add_f32 v[8:9], v[2:3], v[12:13]
	v_pk_add_f32 v[18:19], v[34:35], v[38:39] neg_lo:[0,1] neg_hi:[0,1]
	ds_write2_b64 v20, v[8:9], v[18:19] offset0:120 offset1:180
	v_pk_add_f32 v[6:7], v[6:7], v[14:15] neg_lo:[0,1] neg_hi:[0,1]
	v_pk_add_f32 v[2:3], v[2:3], v[12:13] neg_lo:[0,1] neg_hi:[0,1]
	v_accvgpr_read_b32 v8, a80
	v_mov_b32_e32 v43, v67
	ds_write2_b64 v8, v[6:7], v[2:3] offset0:112 offset1:172
	v_pk_add_f32 v[2:3], v[72:73], v[68:69]
	v_accvgpr_read_b32 v6, a77
	v_pk_add_f32 v[66:67], v[72:73], v[68:69] neg_lo:[0,1] neg_hi:[0,1]
	ds_write2_b64 v6, v[2:3], v[70:71] offset1:60
	v_pk_add_f32 v[2:3], v[42:43], v[46:47]
	v_pk_add_f32 v[56:57], v[56:57], v[60:61]
	v_pk_add_f32 v[44:45], v[42:43], v[46:47] neg_lo:[0,1] neg_hi:[0,1]
	ds_write2_b64 v6, v[2:3], v[66:67] offset0:120 offset1:180
	v_accvgpr_read_b32 v2, a76
	ds_write2_b64 v2, v[40:41], v[44:45] offset0:112 offset1:172
	v_pk_add_f32 v[2:3], v[64:65], v[56:57]
	v_accvgpr_read_b32 v6, a83
	v_pk_add_f32 v[60:61], v[64:65], v[56:57] neg_lo:[0,1] neg_hi:[0,1]
	ds_write2_b64 v6, v[2:3], v[62:63] offset1:60
	v_pk_add_f32 v[2:3], v[52:53], v[58:59]
	v_pk_add_f32 v[30:31], v[50:51], v[26:27] neg_lo:[0,1] neg_hi:[0,1]
	v_pk_add_f32 v[16:17], v[0:1], v[28:29] neg_lo:[0,1] neg_hi:[0,1]
	;; [unrolled: 1-line block ×3, first 2 shown]
	ds_write2_b64 v6, v[2:3], v[60:61] offset0:120 offset1:180
	v_accvgpr_read_b32 v2, a82
	v_accvgpr_read_b32 v6, a99
	v_pk_add_f32 v[0:1], v[0:1], v[28:29]
	ds_write2_b64 v2, v[24:25], v[54:55] offset0:112 offset1:172
	v_pk_add_f32 v[2:3], v[50:51], v[26:27]
	ds_write2_b64 v6, v[0:1], v[30:31] offset0:120 offset1:180
	v_accvgpr_read_b32 v0, a97
	ds_write2_b64 v6, v[2:3], v[48:49] offset1:60
	ds_write2_b64 v0, v[4:5], v[16:17] offset0:112 offset1:172
	s_waitcnt lgkmcnt(0)
	s_barrier
	ds_read2_b64 v[12:15], v240 offset1:96
	ds_read2_b64 v[0:3], v96 offset0:64 offset1:160
	v_accvgpr_read_b32 v20, a148
	v_accvgpr_read_b32 v21, a149
	;; [unrolled: 1-line block ×4, first 2 shown]
	s_waitcnt lgkmcnt(0)
	v_pk_mul_f32 v[4:5], v[230:231], v[2:3] op_sel:[1,0]
	v_accvgpr_read_b32 v33, a151
	v_pk_fma_f32 v[6:7], v[230:231], v[2:3], v[4:5] op_sel:[0,0,1] op_sel_hi:[1,1,0]
	v_pk_fma_f32 v[2:3], v[230:231], v[2:3], v[4:5] op_sel:[0,0,1] op_sel_hi:[0,1,0] neg_lo:[0,0,1] neg_hi:[0,0,1]
	v_mov_b32_e32 v7, v3
	ds_read2_b64 v[2:5], v185 offset1:96
	v_pk_add_f32 v[6:7], v[12:13], v[6:7] neg_lo:[0,1] neg_hi:[0,1]
	v_accvgpr_read_b32 v36, a152
	v_pk_fma_f32 v[8:9], v[12:13], 2.0, v[6:7] op_sel_hi:[1,0,1] neg_lo:[0,0,1] neg_hi:[0,0,1]
	v_accvgpr_read_b32 v37, a153
	s_waitcnt lgkmcnt(0)
	v_pk_mul_f32 v[12:13], v[236:237], v[2:3] op_sel:[1,0]
	v_accvgpr_read_b32 v40, a154
	v_pk_fma_f32 v[16:17], v[236:237], v[2:3], v[12:13] op_sel:[0,0,1] op_sel_hi:[1,1,0]
	v_pk_fma_f32 v[2:3], v[236:237], v[2:3], v[12:13] op_sel:[0,0,1] op_sel_hi:[0,1,0] neg_lo:[0,0,1] neg_hi:[0,0,1]
	v_mov_b32_e32 v17, v3
	v_pk_add_f32 v[12:13], v[14:15], v[16:17] neg_lo:[0,1] neg_hi:[0,1]
	v_pk_mul_f32 v[2:3], v[20:21], v[4:5] op_sel:[1,0]
	v_pk_fma_f32 v[48:49], v[14:15], 2.0, v[12:13] op_sel_hi:[1,0,1] neg_lo:[0,0,1] neg_hi:[0,0,1]
	ds_read2_b64 v[14:17], v95 offset0:64 offset1:160
	v_pk_fma_f32 v[18:19], v[20:21], v[4:5], v[2:3] op_sel:[0,0,1] op_sel_hi:[1,1,0]
	v_pk_fma_f32 v[2:3], v[20:21], v[4:5], v[2:3] op_sel:[0,0,1] op_sel_hi:[0,1,0] neg_lo:[0,0,1] neg_hi:[0,0,1]
	v_mov_b32_e32 v19, v3
	v_accvgpr_read_b32 v41, a155
	s_waitcnt lgkmcnt(0)
	v_pk_add_f32 v[50:51], v[14:15], v[18:19] neg_lo:[0,1] neg_hi:[0,1]
	ds_read2_b64 v[2:5], v71 offset0:64 offset1:160
	ds_read2_b64 v[18:21], v79 offset0:128 offset1:224
	v_accvgpr_read_b32 v42, a156
	v_accvgpr_read_b32 v43, a157
	;; [unrolled: 1-line block ×4, first 2 shown]
	s_waitcnt lgkmcnt(0)
	v_pk_mul_f32 v[22:23], v[232:233], v[20:21] op_sel:[1,0]
	v_accvgpr_read_b32 v62, a160
	v_pk_fma_f32 v[24:25], v[232:233], v[20:21], v[22:23] op_sel:[0,0,1] op_sel_hi:[1,1,0]
	v_pk_fma_f32 v[20:21], v[232:233], v[20:21], v[22:23] op_sel:[0,0,1] op_sel_hi:[0,1,0] neg_lo:[0,0,1] neg_hi:[0,0,1]
	v_mov_b32_e32 v25, v21
	ds_read2_b64 v[20:23], v241 offset0:128 offset1:224
	v_pk_add_f32 v[52:53], v[2:3], v[24:25] neg_lo:[0,1] neg_hi:[0,1]
	v_pk_mul_f32 v[24:25], v[238:239], v[18:19] op_sel:[1,0]
	v_accvgpr_read_b32 v63, a161
	v_pk_fma_f32 v[26:27], v[238:239], v[18:19], v[24:25] op_sel:[0,0,1] op_sel_hi:[1,1,0]
	v_pk_fma_f32 v[18:19], v[238:239], v[18:19], v[24:25] op_sel:[0,0,1] op_sel_hi:[0,1,0] neg_lo:[0,0,1] neg_hi:[0,0,1]
	v_mov_b32_e32 v27, v19
	s_waitcnt lgkmcnt(0)
	v_pk_add_f32 v[18:19], v[22:23], v[26:27] neg_lo:[0,1] neg_hi:[0,1]
	ds_read2_b64 v[24:27], v99 offset0:64 offset1:160
	v_accvgpr_read_b32 v68, a162
	v_accvgpr_read_b32 v69, a163
	v_pk_fma_f32 v[14:15], v[14:15], 2.0, v[50:51] op_sel_hi:[1,0,1] neg_lo:[0,0,1] neg_hi:[0,0,1]
	v_pk_fma_f32 v[2:3], v[2:3], 2.0, v[52:53] op_sel_hi:[1,0,1] neg_lo:[0,0,1] neg_hi:[0,0,1]
	s_waitcnt lgkmcnt(0)
	v_pk_mul_f32 v[28:29], v[32:33], v[26:27] op_sel:[1,0]
	v_accvgpr_read_b32 v66, a107
	v_pk_fma_f32 v[30:31], v[32:33], v[26:27], v[28:29] op_sel:[0,0,1] op_sel_hi:[1,1,0]
	v_pk_fma_f32 v[26:27], v[32:33], v[26:27], v[28:29] op_sel:[0,0,1] op_sel_hi:[0,1,0] neg_lo:[0,0,1] neg_hi:[0,0,1]
	v_mov_b32_e32 v31, v27
	ds_read2_b64 v[26:29], v251 offset0:128 offset1:224
	v_pk_add_f32 v[54:55], v[20:21], v[30:31] neg_lo:[0,1] neg_hi:[0,1]
	s_mov_b32 s2, 0x16c16c17
	s_mov_b32 s3, 0x3f36c16c
	s_waitcnt lgkmcnt(0)
	v_pk_mul_f32 v[30:31], v[234:235], v[28:29] op_sel:[1,0]
	s_nop 0
	v_pk_fma_f32 v[32:33], v[234:235], v[28:29], v[30:31] op_sel:[0,0,1] op_sel_hi:[1,1,0]
	v_pk_fma_f32 v[28:29], v[234:235], v[28:29], v[30:31] op_sel:[0,0,1] op_sel_hi:[0,1,0] neg_lo:[0,0,1] neg_hi:[0,0,1]
	v_mov_b32_e32 v33, v29
	ds_read2_b64 v[28:31], v189 offset0:128 offset1:224
	v_pk_add_f32 v[56:57], v[0:1], v[32:33] neg_lo:[0,1] neg_hi:[0,1]
	v_pk_mul_f32 v[32:33], v[36:37], v[26:27] op_sel:[1,0]
	v_pk_fma_f32 v[0:1], v[0:1], 2.0, v[56:57] op_sel_hi:[1,0,1] neg_lo:[0,0,1] neg_hi:[0,0,1]
	v_pk_fma_f32 v[34:35], v[36:37], v[26:27], v[32:33] op_sel:[0,0,1] op_sel_hi:[1,1,0]
	v_pk_fma_f32 v[26:27], v[36:37], v[26:27], v[32:33] op_sel:[0,0,1] op_sel_hi:[0,1,0] neg_lo:[0,0,1] neg_hi:[0,0,1]
	v_mov_b32_e32 v35, v27
	s_waitcnt lgkmcnt(0)
	v_pk_add_f32 v[26:27], v[30:31], v[34:35] neg_lo:[0,1] neg_hi:[0,1]
	ds_read2_b64 v[32:35], v94 offset0:64 offset1:160
	s_waitcnt lgkmcnt(0)
	v_pk_mul_f32 v[36:37], v[40:41], v[34:35] op_sel:[1,0]
	s_nop 0
	v_pk_fma_f32 v[38:39], v[40:41], v[34:35], v[36:37] op_sel:[0,0,1] op_sel_hi:[1,1,0]
	v_pk_fma_f32 v[34:35], v[40:41], v[34:35], v[36:37] op_sel:[0,0,1] op_sel_hi:[0,1,0] neg_lo:[0,0,1] neg_hi:[0,0,1]
	v_mov_b32_e32 v39, v35
	ds_read2_b64 v[34:37], v119 offset0:64 offset1:160
	v_pk_add_f32 v[58:59], v[28:29], v[38:39] neg_lo:[0,1] neg_hi:[0,1]
	v_pk_mul_f32 v[38:39], v[42:43], v[32:33] op_sel:[1,0]
	s_nop 0
	v_pk_fma_f32 v[40:41], v[42:43], v[32:33], v[38:39] op_sel:[0,0,1] op_sel_hi:[1,1,0]
	v_pk_fma_f32 v[32:33], v[42:43], v[32:33], v[38:39] op_sel:[0,0,1] op_sel_hi:[0,1,0] neg_lo:[0,0,1] neg_hi:[0,0,1]
	v_mov_b32_e32 v41, v33
	s_waitcnt lgkmcnt(0)
	v_pk_add_f32 v[32:33], v[36:37], v[40:41] neg_lo:[0,1] neg_hi:[0,1]
	ds_read2_b64 v[38:41], v181 offset1:96
	s_waitcnt lgkmcnt(0)
	v_pk_mul_f32 v[42:43], v[46:47], v[40:41] op_sel:[1,0]
	s_nop 0
	v_pk_fma_f32 v[44:45], v[46:47], v[40:41], v[42:43] op_sel:[0,0,1] op_sel_hi:[1,1,0]
	v_pk_fma_f32 v[40:41], v[46:47], v[40:41], v[42:43] op_sel:[0,0,1] op_sel_hi:[0,1,0] neg_lo:[0,0,1] neg_hi:[0,0,1]
	v_mov_b32_e32 v45, v41
	ds_read2_b64 v[40:43], v201 offset1:96
	v_pk_add_f32 v[60:61], v[34:35], v[44:45] neg_lo:[0,1] neg_hi:[0,1]
	v_pk_mul_f32 v[44:45], v[62:63], v[38:39] op_sel:[1,0]
	s_nop 0
	v_pk_fma_f32 v[46:47], v[62:63], v[38:39], v[44:45] op_sel:[0,0,1] op_sel_hi:[1,1,0]
	v_pk_fma_f32 v[38:39], v[62:63], v[38:39], v[44:45] op_sel:[0,0,1] op_sel_hi:[0,1,0] neg_lo:[0,0,1] neg_hi:[0,0,1]
	v_mov_b32_e32 v47, v39
	s_waitcnt lgkmcnt(0)
	v_pk_add_f32 v[38:39], v[42:43], v[46:47] neg_lo:[0,1] neg_hi:[0,1]
	ds_read2_b64 v[44:47], v97 offset0:64 offset1:160
	s_waitcnt lgkmcnt(0)
	s_barrier
	ds_write_b64 v240, v[6:7] offset:2880
	ds_write2_b64 v240, v[8:9], v[48:49] offset1:96
	ds_write_b64 v240, v[14:15] offset:1536
	v_pk_mul_f32 v[62:63], v[68:69], v[46:47] op_sel:[1,0]
	v_accvgpr_read_b32 v6, a113
	v_pk_fma_f32 v[64:65], v[68:69], v[46:47], v[62:63] op_sel:[0,0,1] op_sel_hi:[1,1,0]
	v_pk_fma_f32 v[46:47], v[68:69], v[46:47], v[62:63] op_sel:[0,0,1] op_sel_hi:[0,1,0] neg_lo:[0,0,1] neg_hi:[0,0,1]
	v_accvgpr_read_b32 v68, a164
	v_accvgpr_read_b32 v69, a165
	v_mov_b32_e32 v65, v47
	v_pk_mul_f32 v[62:63], v[68:69], v[44:45] op_sel:[1,0]
	v_pk_add_f32 v[46:47], v[40:41], v[64:65] neg_lo:[0,1] neg_hi:[0,1]
	v_pk_fma_f32 v[64:65], v[68:69], v[44:45], v[62:63] op_sel:[0,0,1] op_sel_hi:[1,1,0]
	v_pk_fma_f32 v[44:45], v[68:69], v[44:45], v[62:63] op_sel:[0,0,1] op_sel_hi:[0,1,0] neg_lo:[0,0,1] neg_hi:[0,0,1]
	v_accvgpr_read_b32 v68, a166
	v_accvgpr_read_b32 v69, a167
	v_mov_b32_e32 v65, v45
	v_pk_mul_f32 v[62:63], v[68:69], v[24:25] op_sel:[1,0]
	v_pk_add_f32 v[44:45], v[4:5], v[64:65] neg_lo:[0,1] neg_hi:[0,1]
	v_pk_fma_f32 v[64:65], v[68:69], v[24:25], v[62:63] op_sel:[0,0,1] op_sel_hi:[1,1,0]
	v_pk_fma_f32 v[24:25], v[68:69], v[24:25], v[62:63] op_sel:[0,0,1] op_sel_hi:[0,1,0] neg_lo:[0,0,1] neg_hi:[0,0,1]
	v_mov_b32_e32 v65, v25
	v_pk_add_f32 v[24:25], v[16:17], v[64:65] neg_lo:[0,1] neg_hi:[0,1]
	ds_write2_b64 v6, v[12:13], v[50:51] offset0:72 offset1:168
	v_pk_fma_f32 v[16:17], v[16:17], 2.0, v[24:25] op_sel_hi:[1,0,1] neg_lo:[0,0,1] neg_hi:[0,0,1]
	v_accvgpr_read_b32 v6, a133
	ds_write_b64 v6, v[16:17]
	ds_write_b64 v6, v[24:25] offset:2880
	v_pk_fma_f32 v[6:7], v[20:21], 2.0, v[54:55] op_sel_hi:[1,0,1] neg_lo:[0,0,1] neg_hi:[0,0,1]
	v_pk_fma_f32 v[8:9], v[22:23], 2.0, v[18:19] op_sel_hi:[1,0,1] neg_lo:[0,0,1] neg_hi:[0,0,1]
	v_accvgpr_read_b32 v12, a111
	ds_write2_b64 v119, v[2:3], v[54:55] offset0:40 offset1:208
	v_pk_fma_f32 v[2:3], v[4:5], 2.0, v[44:45] op_sel_hi:[1,0,1] neg_lo:[0,0,1] neg_hi:[0,0,1]
	v_accvgpr_read_b32 v4, a137
	ds_write2_b64 v12, v[6:7], v[8:9] offset0:104 offset1:200
	ds_write2_b64 v66, v[18:19], v[52:53] offset0:48 offset1:144
	ds_write_b64 v4, v[2:3]
	ds_write_b64 v4, v[44:45] offset:2880
	v_pk_fma_f32 v[2:3], v[40:41], 2.0, v[46:47] op_sel_hi:[1,0,1] neg_lo:[0,0,1] neg_hi:[0,0,1]
	v_accvgpr_read_b32 v4, a135
	ds_write_b64 v4, v[2:3] offset:11520
	ds_write_b64 v4, v[46:47] offset:14400
	v_pk_fma_f32 v[2:3], v[42:43], 2.0, v[38:39] op_sel_hi:[1,0,1] neg_lo:[0,0,1] neg_hi:[0,0,1]
	v_accvgpr_read_b32 v4, a129
	ds_write_b64 v4, v[2:3] offset:11520
	;; [unrolled: 4-line block ×3, first 2 shown]
	ds_write_b64 v4, v[60:61] offset:14400
	v_pk_fma_f32 v[2:3], v[36:37], 2.0, v[32:33] op_sel_hi:[1,0,1] neg_lo:[0,0,1] neg_hi:[0,0,1]
	v_accvgpr_read_b32 v4, a123
	ds_write_b64 v4, v[2:3]
	ds_write_b64 v4, v[32:33] offset:2880
	v_pk_fma_f32 v[2:3], v[28:29], 2.0, v[58:59] op_sel_hi:[1,0,1] neg_lo:[0,0,1] neg_hi:[0,0,1]
	v_accvgpr_read_b32 v4, a121
	ds_write_b64 v4, v[2:3] offset:17280
	ds_write_b64 v4, v[58:59] offset:20160
	v_pk_fma_f32 v[2:3], v[30:31], 2.0, v[26:27] op_sel_hi:[1,0,1] neg_lo:[0,0,1] neg_hi:[0,0,1]
	v_accvgpr_read_b32 v4, a119
	ds_write_b64 v4, v[2:3] offset:17280
	ds_write_b64 v4, v[26:27] offset:20160
	v_accvgpr_read_b32 v2, a117
	ds_write_b64 v2, v[0:1] offset:17280
	ds_write_b64 v2, v[56:57] offset:20160
	s_waitcnt lgkmcnt(0)
	s_barrier
	ds_read2_b64 v[4:7], v71 offset0:64 offset1:160
	ds_read2_b64 v[0:3], v79 offset0:128 offset1:224
	;; [unrolled: 1-line block ×4, first 2 shown]
	s_waitcnt lgkmcnt(2)
	v_pk_mul_f32 v[8:9], v[10:11], v[2:3] op_sel:[1,0]
	s_nop 0
	v_pk_fma_f32 v[12:13], v[10:11], v[2:3], v[8:9] op_sel:[0,0,1] op_sel_hi:[1,1,0]
	v_pk_fma_f32 v[2:3], v[10:11], v[2:3], v[8:9] op_sel:[0,0,1] op_sel_hi:[0,1,0] neg_lo:[0,0,1] neg_hi:[0,0,1]
	v_mov_b32_e32 v13, v3
	v_pk_mul_f32 v[2:3], v[204:205], v[0:1] op_sel:[1,0]
	v_pk_add_f32 v[8:9], v[4:5], v[12:13] neg_lo:[0,1] neg_hi:[0,1]
	v_pk_fma_f32 v[10:11], v[204:205], v[0:1], v[2:3] op_sel:[0,0,1] op_sel_hi:[1,1,0]
	v_pk_fma_f32 v[0:1], v[204:205], v[0:1], v[2:3] op_sel:[0,0,1] op_sel_hi:[0,1,0] neg_lo:[0,0,1] neg_hi:[0,0,1]
	v_mov_b32_e32 v11, v1
	s_waitcnt lgkmcnt(1)
	v_pk_mul_f32 v[0:1], v[206:207], v[20:21] op_sel:[1,0]
	v_pk_fma_f32 v[46:47], v[4:5], 2.0, v[8:9] op_sel_hi:[1,0,1] neg_lo:[0,0,1] neg_hi:[0,0,1]
	v_pk_fma_f32 v[2:3], v[206:207], v[20:21], v[0:1] op_sel:[0,0,1] op_sel_hi:[1,1,0]
	v_pk_fma_f32 v[0:1], v[206:207], v[20:21], v[0:1] op_sel:[0,0,1] op_sel_hi:[0,1,0] neg_lo:[0,0,1] neg_hi:[0,0,1]
	v_mov_b32_e32 v3, v1
	s_waitcnt lgkmcnt(0)
	v_pk_add_f32 v[12:13], v[14:15], v[2:3] neg_lo:[0,1] neg_hi:[0,1]
	ds_read2_b64 v[20:23], v240 offset1:96
	ds_read2_b64 v[0:3], v96 offset0:64 offset1:160
	v_pk_add_f32 v[10:11], v[16:17], v[10:11] neg_lo:[0,1] neg_hi:[0,1]
	v_pk_fma_f32 v[42:43], v[14:15], 2.0, v[12:13] op_sel_hi:[1,0,1] neg_lo:[0,0,1] neg_hi:[0,0,1]
	v_pk_fma_f32 v[44:45], v[16:17], 2.0, v[10:11] op_sel_hi:[1,0,1] neg_lo:[0,0,1] neg_hi:[0,0,1]
	s_waitcnt lgkmcnt(0)
	v_pk_mul_f32 v[24:25], v[210:211], v[2:3] op_sel:[1,0]
	s_nop 0
	v_pk_fma_f32 v[26:27], v[210:211], v[2:3], v[24:25] op_sel:[0,0,1] op_sel_hi:[1,1,0]
	v_pk_fma_f32 v[2:3], v[210:211], v[2:3], v[24:25] op_sel:[0,0,1] op_sel_hi:[0,1,0] neg_lo:[0,0,1] neg_hi:[0,0,1]
	v_mov_b32_e32 v27, v3
	v_pk_add_f32 v[28:29], v[20:21], v[26:27] neg_lo:[0,1] neg_hi:[0,1]
	ds_read2_b64 v[24:27], v185 offset1:96
	v_pk_fma_f32 v[30:31], v[20:21], 2.0, v[28:29] op_sel_hi:[1,0,1] neg_lo:[0,0,1] neg_hi:[0,0,1]
	s_waitcnt lgkmcnt(0)
	v_pk_mul_f32 v[2:3], v[218:219], v[24:25] op_sel:[1,0]
	s_nop 0
	v_pk_fma_f32 v[20:21], v[218:219], v[24:25], v[2:3] op_sel:[0,0,1] op_sel_hi:[1,1,0]
	v_pk_fma_f32 v[2:3], v[218:219], v[24:25], v[2:3] op_sel:[0,0,1] op_sel_hi:[0,1,0] neg_lo:[0,0,1] neg_hi:[0,0,1]
	v_mov_b32_e32 v21, v3
	v_pk_add_f32 v[32:33], v[22:23], v[20:21] neg_lo:[0,1] neg_hi:[0,1]
	v_pk_mul_f32 v[2:3], v[222:223], v[26:27] op_sel:[1,0]
	v_pk_fma_f32 v[34:35], v[22:23], 2.0, v[32:33] op_sel_hi:[1,0,1] neg_lo:[0,0,1] neg_hi:[0,0,1]
	ds_read2_b64 v[20:23], v95 offset0:64 offset1:160
	v_pk_fma_f32 v[24:25], v[222:223], v[26:27], v[2:3] op_sel:[0,0,1] op_sel_hi:[1,1,0]
	v_pk_fma_f32 v[2:3], v[222:223], v[26:27], v[2:3] op_sel:[0,0,1] op_sel_hi:[0,1,0] neg_lo:[0,0,1] neg_hi:[0,0,1]
	v_mov_b32_e32 v25, v3
	v_pk_mul_f32 v[2:3], v[224:225], v[18:19] op_sel:[1,0]
	s_waitcnt lgkmcnt(0)
	v_pk_add_f32 v[26:27], v[20:21], v[24:25] neg_lo:[0,1] neg_hi:[0,1]
	s_nop 0
	v_pk_fma_f32 v[36:37], v[20:21], 2.0, v[26:27] op_sel_hi:[1,0,1] neg_lo:[0,0,1] neg_hi:[0,0,1]
	v_pk_fma_f32 v[20:21], v[224:225], v[18:19], v[2:3] op_sel:[0,0,1] op_sel_hi:[1,1,0]
	v_pk_fma_f32 v[2:3], v[224:225], v[18:19], v[2:3] op_sel:[0,0,1] op_sel_hi:[0,1,0] neg_lo:[0,0,1] neg_hi:[0,0,1]
	v_mov_b32_e32 v21, v3
	ds_read2_b64 v[2:5], v251 offset0:128 offset1:224
	v_pk_add_f32 v[38:39], v[22:23], v[20:21] neg_lo:[0,1] neg_hi:[0,1]
	s_waitcnt lgkmcnt(0)
	v_pk_mul_f32 v[14:15], v[202:203], v[4:5] op_sel:[1,0]
	s_nop 0
	v_pk_fma_f32 v[16:17], v[202:203], v[4:5], v[14:15] op_sel:[0,0,1] op_sel_hi:[1,1,0]
	v_pk_fma_f32 v[4:5], v[202:203], v[4:5], v[14:15] op_sel:[0,0,1] op_sel_hi:[0,1,0] neg_lo:[0,0,1] neg_hi:[0,0,1]
	v_mov_b32_e32 v17, v5
	v_pk_mul_f32 v[4:5], v[208:209], v[2:3] op_sel:[1,0]
	v_pk_add_f32 v[48:49], v[0:1], v[16:17] neg_lo:[0,1] neg_hi:[0,1]
	v_pk_fma_f32 v[18:19], v[208:209], v[2:3], v[4:5] op_sel:[0,0,1] op_sel_hi:[1,1,0]
	v_pk_fma_f32 v[2:3], v[208:209], v[2:3], v[4:5] op_sel:[0,0,1] op_sel_hi:[0,1,0] neg_lo:[0,0,1] neg_hi:[0,0,1]
	ds_read2_b64 v[14:17], v189 offset0:128 offset1:224
	v_mov_b32_e32 v19, v3
	ds_read2_b64 v[2:5], v94 offset0:64 offset1:160
	v_pk_fma_f32 v[40:41], v[22:23], 2.0, v[38:39] op_sel_hi:[1,0,1] neg_lo:[0,0,1] neg_hi:[0,0,1]
	v_pk_fma_f32 v[0:1], v[0:1], 2.0, v[48:49] op_sel_hi:[1,0,1] neg_lo:[0,0,1] neg_hi:[0,0,1]
	s_waitcnt lgkmcnt(1)
	v_pk_add_f32 v[50:51], v[16:17], v[18:19] neg_lo:[0,1] neg_hi:[0,1]
	s_waitcnt lgkmcnt(0)
	v_pk_mul_f32 v[18:19], v[212:213], v[4:5] op_sel:[1,0]
	s_nop 0
	v_pk_fma_f32 v[20:21], v[212:213], v[4:5], v[18:19] op_sel:[0,0,1] op_sel_hi:[1,1,0]
	v_pk_fma_f32 v[4:5], v[212:213], v[4:5], v[18:19] op_sel:[0,0,1] op_sel_hi:[0,1,0] neg_lo:[0,0,1] neg_hi:[0,0,1]
	v_mov_b32_e32 v21, v5
	v_pk_mul_f32 v[4:5], v[214:215], v[2:3] op_sel:[1,0]
	v_pk_add_f32 v[52:53], v[14:15], v[20:21] neg_lo:[0,1] neg_hi:[0,1]
	v_pk_fma_f32 v[22:23], v[214:215], v[2:3], v[4:5] op_sel:[0,0,1] op_sel_hi:[1,1,0]
	v_pk_fma_f32 v[2:3], v[214:215], v[2:3], v[4:5] op_sel:[0,0,1] op_sel_hi:[0,1,0] neg_lo:[0,0,1] neg_hi:[0,0,1]
	ds_read2_b64 v[18:21], v119 offset0:64 offset1:160
	v_mov_b32_e32 v23, v3
	ds_read2_b64 v[2:5], v181 offset1:96
	s_waitcnt lgkmcnt(1)
	v_pk_add_f32 v[54:55], v[20:21], v[22:23] neg_lo:[0,1] neg_hi:[0,1]
	s_waitcnt lgkmcnt(0)
	v_pk_mul_f32 v[22:23], v[216:217], v[4:5] op_sel:[1,0]
	s_nop 0
	v_pk_fma_f32 v[24:25], v[216:217], v[4:5], v[22:23] op_sel:[0,0,1] op_sel_hi:[1,1,0]
	v_pk_fma_f32 v[4:5], v[216:217], v[4:5], v[22:23] op_sel:[0,0,1] op_sel_hi:[0,1,0] neg_lo:[0,0,1] neg_hi:[0,0,1]
	v_mov_b32_e32 v25, v5
	v_pk_mul_f32 v[4:5], v[220:221], v[2:3] op_sel:[1,0]
	v_pk_add_f32 v[56:57], v[18:19], v[24:25] neg_lo:[0,1] neg_hi:[0,1]
	v_pk_fma_f32 v[58:59], v[220:221], v[2:3], v[4:5] op_sel:[0,0,1] op_sel_hi:[1,1,0]
	v_pk_fma_f32 v[2:3], v[220:221], v[2:3], v[4:5] op_sel:[0,0,1] op_sel_hi:[0,1,0] neg_lo:[0,0,1] neg_hi:[0,0,1]
	v_mov_b32_e32 v59, v3
	ds_read2_b64 v[2:5], v97 offset0:64 offset1:160
	ds_read2_b64 v[22:25], v201 offset1:96
	s_waitcnt lgkmcnt(0)
	s_barrier
	v_pk_mul_f32 v[60:61], v[226:227], v[4:5] op_sel:[1,0]
	v_pk_add_f32 v[58:59], v[24:25], v[58:59] neg_lo:[0,1] neg_hi:[0,1]
	v_pk_fma_f32 v[62:63], v[226:227], v[4:5], v[60:61] op_sel:[0,0,1] op_sel_hi:[1,1,0]
	v_pk_fma_f32 v[4:5], v[226:227], v[4:5], v[60:61] op_sel:[0,0,1] op_sel_hi:[0,1,0] neg_lo:[0,0,1] neg_hi:[0,0,1]
	v_mov_b32_e32 v63, v5
	v_pk_mul_f32 v[60:61], v[228:229], v[2:3] op_sel:[1,0]
	v_pk_add_f32 v[4:5], v[22:23], v[62:63] neg_lo:[0,1] neg_hi:[0,1]
	v_pk_fma_f32 v[62:63], v[228:229], v[2:3], v[60:61] op_sel:[0,0,1] op_sel_hi:[1,1,0]
	v_pk_fma_f32 v[2:3], v[228:229], v[2:3], v[60:61] op_sel:[0,0,1] op_sel_hi:[0,1,0] neg_lo:[0,0,1] neg_hi:[0,0,1]
	v_mov_b32_e32 v63, v3
	v_pk_add_f32 v[2:3], v[6:7], v[62:63] neg_lo:[0,1] neg_hi:[0,1]
	ds_write_b64 v240, v[28:29] offset:5760
	ds_write2_b64 v240, v[30:31], v[34:35] offset1:96
	ds_write2_b64 v201, v[32:33], v[26:27] offset0:48 offset1:144
	ds_write2_b64 v95, v[36:37], v[40:41] offset0:64 offset1:160
	;; [unrolled: 1-line block ×4, first 2 shown]
	ds_write_b64 v240, v[46:47] offset:4608
	ds_write2_b64 v66, v[10:11], v[8:9] offset0:48 offset1:144
	v_pk_fma_f32 v[6:7], v[6:7], 2.0, v[2:3] op_sel_hi:[1,0,1] neg_lo:[0,0,1] neg_hi:[0,0,1]
	v_accvgpr_read_b32 v8, a141
	ds_write_b64 v8, v[6:7]
	ds_write_b64 v8, v[2:3] offset:5760
	v_pk_fma_f32 v[2:3], v[22:23], 2.0, v[4:5] op_sel_hi:[1,0,1] neg_lo:[0,0,1] neg_hi:[0,0,1]
	v_pk_fma_f32 v[6:7], v[24:25], 2.0, v[58:59] op_sel_hi:[1,0,1] neg_lo:[0,0,1] neg_hi:[0,0,1]
	v_accvgpr_read_b32 v8, a109
	ds_write2_b64 v8, v[2:3], v[6:7] offset0:80 offset1:176
	v_pk_fma_f32 v[2:3], v[18:19], 2.0, v[56:57] op_sel_hi:[1,0,1] neg_lo:[0,0,1] neg_hi:[0,0,1]
	v_pk_fma_f32 v[6:7], v[20:21], 2.0, v[54:55] op_sel_hi:[1,0,1] neg_lo:[0,0,1] neg_hi:[0,0,1]
	ds_write2_b64 v185, v[2:3], v[6:7] offset0:144 offset1:240
	v_pk_fma_f32 v[2:3], v[14:15], 2.0, v[52:53] op_sel_hi:[1,0,1] neg_lo:[0,0,1] neg_hi:[0,0,1]
	v_pk_fma_f32 v[6:7], v[16:17], 2.0, v[50:51] op_sel_hi:[1,0,1] neg_lo:[0,0,1] neg_hi:[0,0,1]
	ds_write2_b64 v181, v[58:59], v[56:57] offset1:96
	ds_write2_b64 v94, v[54:55], v[52:53] offset0:64 offset1:160
	ds_write2_b64 v79, v[2:3], v[6:7] offset0:80 offset1:176
	;; [unrolled: 1-line block ×4, first 2 shown]
	s_waitcnt lgkmcnt(0)
	s_barrier
	ds_read2_b64 v[4:7], v240 offset1:96
	ds_read2_b64 v[0:3], v96 offset0:64 offset1:160
	v_accvgpr_read_b32 v55, a115
	v_accvgpr_read_b32 v48, a168
	;; [unrolled: 1-line block ×3, first 2 shown]
	s_waitcnt lgkmcnt(0)
	v_pk_mul_f32 v[8:9], v[162:163], v[2:3] op_sel:[1,0]
	s_nop 0
	v_pk_fma_f32 v[10:11], v[162:163], v[2:3], v[8:9] op_sel:[0,0,1] op_sel_hi:[1,1,0]
	v_pk_fma_f32 v[2:3], v[162:163], v[2:3], v[8:9] op_sel:[0,0,1] op_sel_hi:[0,1,0] neg_lo:[0,0,1] neg_hi:[0,0,1]
	v_mov_b32_e32 v11, v3
	v_pk_add_f32 v[2:3], v[4:5], v[10:11] neg_lo:[0,1] neg_hi:[0,1]
	ds_read2_b64 v[8:11], v185 offset1:96
	v_pk_fma_f32 v[20:21], v[4:5], 2.0, v[2:3] op_sel_hi:[1,0,1] neg_lo:[0,0,1] neg_hi:[0,0,1]
	s_waitcnt lgkmcnt(0)
	v_pk_mul_f32 v[4:5], v[164:165], v[8:9] op_sel:[1,0]
	s_nop 0
	v_pk_fma_f32 v[12:13], v[164:165], v[8:9], v[4:5] op_sel:[0,0,1] op_sel_hi:[1,1,0]
	v_pk_fma_f32 v[4:5], v[164:165], v[8:9], v[4:5] op_sel:[0,0,1] op_sel_hi:[0,1,0] neg_lo:[0,0,1] neg_hi:[0,0,1]
	v_mov_b32_e32 v13, v5
	v_pk_add_f32 v[4:5], v[6:7], v[12:13] neg_lo:[0,1] neg_hi:[0,1]
	ds_read2_b64 v[12:15], v95 offset0:64 offset1:160
	v_pk_fma_f32 v[22:23], v[6:7], 2.0, v[4:5] op_sel_hi:[1,0,1] neg_lo:[0,0,1] neg_hi:[0,0,1]
	v_pk_mul_f32 v[6:7], v[166:167], v[10:11] op_sel:[1,0]
	s_nop 0
	v_pk_fma_f32 v[8:9], v[166:167], v[10:11], v[6:7] op_sel:[0,0,1] op_sel_hi:[1,1,0]
	v_pk_fma_f32 v[6:7], v[166:167], v[10:11], v[6:7] op_sel:[0,0,1] op_sel_hi:[0,1,0] neg_lo:[0,0,1] neg_hi:[0,0,1]
	v_mov_b32_e32 v9, v7
	s_waitcnt lgkmcnt(0)
	v_pk_add_f32 v[6:7], v[12:13], v[8:9] neg_lo:[0,1] neg_hi:[0,1]
	ds_read2_b64 v[8:11], v99 offset0:64 offset1:160
	v_pk_fma_f32 v[24:25], v[12:13], 2.0, v[6:7] op_sel_hi:[1,0,1] neg_lo:[0,0,1] neg_hi:[0,0,1]
	s_waitcnt lgkmcnt(0)
	v_pk_mul_f32 v[12:13], v[168:169], v[8:9] op_sel:[1,0]
	s_nop 0
	v_pk_fma_f32 v[16:17], v[168:169], v[8:9], v[12:13] op_sel:[0,0,1] op_sel_hi:[1,1,0]
	v_pk_fma_f32 v[8:9], v[168:169], v[8:9], v[12:13] op_sel:[0,0,1] op_sel_hi:[0,1,0] neg_lo:[0,0,1] neg_hi:[0,0,1]
	v_mov_b32_e32 v17, v9
	v_pk_add_f32 v[8:9], v[14:15], v[16:17] neg_lo:[0,1] neg_hi:[0,1]
	v_pk_mul_f32 v[16:17], v[170:171], v[10:11] op_sel:[1,0]
	v_pk_fma_f32 v[26:27], v[14:15], 2.0, v[8:9] op_sel_hi:[1,0,1] neg_lo:[0,0,1] neg_hi:[0,0,1]
	ds_read2_b64 v[12:15], v241 offset0:128 offset1:224
	v_pk_fma_f32 v[18:19], v[170:171], v[10:11], v[16:17] op_sel:[0,0,1] op_sel_hi:[1,1,0]
	v_pk_fma_f32 v[10:11], v[170:171], v[10:11], v[16:17] op_sel:[0,0,1] op_sel_hi:[0,1,0] neg_lo:[0,0,1] neg_hi:[0,0,1]
	v_mov_b32_e32 v19, v11
	s_waitcnt lgkmcnt(0)
	v_pk_add_f32 v[10:11], v[12:13], v[18:19] neg_lo:[0,1] neg_hi:[0,1]
	ds_read2_b64 v[16:19], v79 offset0:128 offset1:224
	v_pk_fma_f32 v[28:29], v[12:13], 2.0, v[10:11] op_sel_hi:[1,0,1] neg_lo:[0,0,1] neg_hi:[0,0,1]
	s_waitcnt lgkmcnt(0)
	v_pk_mul_f32 v[12:13], v[172:173], v[16:17] op_sel:[1,0]
	s_nop 0
	v_pk_fma_f32 v[30:31], v[172:173], v[16:17], v[12:13] op_sel:[0,0,1] op_sel_hi:[1,1,0]
	v_pk_fma_f32 v[12:13], v[172:173], v[16:17], v[12:13] op_sel:[0,0,1] op_sel_hi:[0,1,0] neg_lo:[0,0,1] neg_hi:[0,0,1]
	v_mov_b32_e32 v31, v13
	v_pk_add_f32 v[30:31], v[14:15], v[30:31] neg_lo:[0,1] neg_hi:[0,1]
	v_pk_mul_f32 v[16:17], v[174:175], v[18:19] op_sel:[1,0]
	v_pk_fma_f32 v[32:33], v[14:15], 2.0, v[30:31] op_sel_hi:[1,0,1] neg_lo:[0,0,1] neg_hi:[0,0,1]
	ds_read2_b64 v[12:15], v55 offset0:64 offset1:160
	v_pk_fma_f32 v[34:35], v[174:175], v[18:19], v[16:17] op_sel:[0,0,1] op_sel_hi:[1,1,0]
	v_pk_fma_f32 v[16:17], v[174:175], v[18:19], v[16:17] op_sel:[0,0,1] op_sel_hi:[0,1,0] neg_lo:[0,0,1] neg_hi:[0,0,1]
	v_mov_b32_e32 v35, v17
	ds_read2_b64 v[16:19], v97 offset0:64 offset1:160
	s_waitcnt lgkmcnt(1)
	v_pk_add_f32 v[34:35], v[12:13], v[34:35] neg_lo:[0,1] neg_hi:[0,1]
	s_nop 0
	v_pk_fma_f32 v[36:37], v[12:13], 2.0, v[34:35] op_sel_hi:[1,0,1] neg_lo:[0,0,1] neg_hi:[0,0,1]
	s_waitcnt lgkmcnt(0)
	v_pk_mul_f32 v[12:13], v[178:179], v[16:17] op_sel:[1,0]
	s_nop 0
	v_pk_fma_f32 v[38:39], v[178:179], v[16:17], v[12:13] op_sel:[0,0,1] op_sel_hi:[1,1,0]
	v_pk_fma_f32 v[12:13], v[178:179], v[16:17], v[12:13] op_sel:[0,0,1] op_sel_hi:[0,1,0] neg_lo:[0,0,1] neg_hi:[0,0,1]
	v_mov_b32_e32 v39, v13
	v_pk_add_f32 v[38:39], v[14:15], v[38:39] neg_lo:[0,1] neg_hi:[0,1]
	v_pk_mul_f32 v[16:17], v[252:253], v[18:19] op_sel:[1,0]
	v_pk_fma_f32 v[40:41], v[14:15], 2.0, v[38:39] op_sel_hi:[1,0,1] neg_lo:[0,0,1] neg_hi:[0,0,1]
	ds_read2_b64 v[12:15], v201 offset1:96
	v_pk_fma_f32 v[42:43], v[252:253], v[18:19], v[16:17] op_sel:[0,0,1] op_sel_hi:[1,1,0]
	v_pk_fma_f32 v[16:17], v[252:253], v[18:19], v[16:17] op_sel:[0,0,1] op_sel_hi:[0,1,0] neg_lo:[0,0,1] neg_hi:[0,0,1]
	v_mov_b32_e32 v43, v17
	ds_read2_b64 v[16:19], v181 offset1:96
	s_waitcnt lgkmcnt(1)
	v_pk_add_f32 v[42:43], v[12:13], v[42:43] neg_lo:[0,1] neg_hi:[0,1]
	s_nop 0
	v_pk_fma_f32 v[44:45], v[12:13], 2.0, v[42:43] op_sel_hi:[1,0,1] neg_lo:[0,0,1] neg_hi:[0,0,1]
	s_waitcnt lgkmcnt(0)
	v_pk_mul_f32 v[12:13], v[48:49], v[16:17] op_sel:[1,0]
	s_nop 0
	v_pk_fma_f32 v[46:47], v[48:49], v[16:17], v[12:13] op_sel:[0,0,1] op_sel_hi:[1,1,0]
	v_pk_fma_f32 v[12:13], v[48:49], v[16:17], v[12:13] op_sel:[0,0,1] op_sel_hi:[0,1,0] neg_lo:[0,0,1] neg_hi:[0,0,1]
	v_mov_b32_e32 v47, v13
	v_pk_add_f32 v[46:47], v[14:15], v[46:47] neg_lo:[0,1] neg_hi:[0,1]
	v_pk_mul_f32 v[48:49], v[190:191], v[18:19] op_sel:[1,0]
	v_pk_fma_f32 v[16:17], v[14:15], 2.0, v[46:47] op_sel_hi:[1,0,1] neg_lo:[0,0,1] neg_hi:[0,0,1]
	ds_read2_b64 v[12:15], v119 offset0:64 offset1:160
	v_pk_fma_f32 v[50:51], v[190:191], v[18:19], v[48:49] op_sel:[0,0,1] op_sel_hi:[1,1,0]
	v_pk_fma_f32 v[18:19], v[190:191], v[18:19], v[48:49] op_sel:[0,0,1] op_sel_hi:[0,1,0] neg_lo:[0,0,1] neg_hi:[0,0,1]
	ds_write2_b64 v240, v[20:21], v[22:23] offset1:96
	ds_write2_b64 v95, v[24:25], v[26:27] offset0:64 offset1:160
	ds_write2_b64 v241, v[28:29], v[32:33] offset0:128 offset1:224
	;; [unrolled: 1-line block ×3, first 2 shown]
	ds_write2_b64 v201, v[44:45], v[16:17] offset1:96
	v_mov_b32_e32 v51, v19
	ds_read2_b64 v[16:19], v94 offset0:64 offset1:160
	s_waitcnt lgkmcnt(6)
	v_pk_add_f32 v[48:49], v[12:13], v[50:51] neg_lo:[0,1] neg_hi:[0,1]
	ds_write2_b64 v97, v[38:39], v[42:43] offset0:64 offset1:160
	ds_write_b64 v240, v[46:47] offset:18432
	v_pk_fma_f32 v[50:51], v[12:13], 2.0, v[48:49] op_sel_hi:[1,0,1] neg_lo:[0,0,1] neg_hi:[0,0,1]
	v_mov_b32_e32 v32, 0x1200
	s_waitcnt lgkmcnt(2)
	v_pk_mul_f32 v[12:13], v[192:193], v[16:17] op_sel:[1,0]
	s_nop 0
	v_pk_fma_f32 v[20:21], v[192:193], v[16:17], v[12:13] op_sel:[0,0,1] op_sel_hi:[1,1,0]
	v_pk_fma_f32 v[12:13], v[192:193], v[16:17], v[12:13] op_sel:[0,0,1] op_sel_hi:[0,1,0] neg_lo:[0,0,1] neg_hi:[0,0,1]
	v_pk_mul_f32 v[16:17], v[194:195], v[18:19] op_sel:[1,0]
	v_mov_b32_e32 v21, v13
	v_pk_fma_f32 v[24:25], v[194:195], v[18:19], v[16:17] op_sel:[0,0,1] op_sel_hi:[1,1,0]
	v_pk_fma_f32 v[16:17], v[194:195], v[18:19], v[16:17] op_sel:[0,0,1] op_sel_hi:[0,1,0] neg_lo:[0,0,1] neg_hi:[0,0,1]
	v_mov_b32_e32 v25, v17
	ds_read2_b64 v[16:19], v251 offset0:128 offset1:224
	v_pk_add_f32 v[20:21], v[14:15], v[20:21] neg_lo:[0,1] neg_hi:[0,1]
	s_waitcnt lgkmcnt(0)
	v_pk_mul_f32 v[26:27], v[196:197], v[16:17] op_sel:[1,0]
	v_pk_fma_f32 v[22:23], v[14:15], 2.0, v[20:21] op_sel_hi:[1,0,1] neg_lo:[0,0,1] neg_hi:[0,0,1]
	ds_read2_b64 v[12:15], v189 offset0:128 offset1:224
	v_pk_fma_f32 v[28:29], v[196:197], v[16:17], v[26:27] op_sel:[0,0,1] op_sel_hi:[1,1,0]
	v_pk_fma_f32 v[16:17], v[196:197], v[16:17], v[26:27] op_sel:[0,0,1] op_sel_hi:[0,1,0] neg_lo:[0,0,1] neg_hi:[0,0,1]
	v_mov_b32_e32 v29, v17
	v_pk_mul_f32 v[26:27], v[198:199], v[18:19] op_sel:[1,0]
	s_waitcnt lgkmcnt(0)
	v_pk_add_f32 v[16:17], v[14:15], v[28:29] neg_lo:[0,1] neg_hi:[0,1]
	v_pk_fma_f32 v[28:29], v[198:199], v[18:19], v[26:27] op_sel:[0,0,1] op_sel_hi:[1,1,0]
	v_pk_fma_f32 v[18:19], v[198:199], v[18:19], v[26:27] op_sel:[0,0,1] op_sel_hi:[0,1,0] neg_lo:[0,0,1] neg_hi:[0,0,1]
	v_pk_add_f32 v[24:25], v[12:13], v[24:25] neg_lo:[0,1] neg_hi:[0,1]
	v_mov_b32_e32 v29, v19
	v_pk_fma_f32 v[12:13], v[12:13], 2.0, v[24:25] op_sel_hi:[1,0,1] neg_lo:[0,0,1] neg_hi:[0,0,1]
	v_pk_add_f32 v[18:19], v[0:1], v[28:29] neg_lo:[0,1] neg_hi:[0,1]
	v_pk_fma_f32 v[14:15], v[14:15], 2.0, v[16:17] op_sel_hi:[1,0,1] neg_lo:[0,0,1] neg_hi:[0,0,1]
	v_pk_fma_f32 v[0:1], v[0:1], 2.0, v[18:19] op_sel_hi:[1,0,1] neg_lo:[0,0,1] neg_hi:[0,0,1]
	ds_write2_b64 v185, v[4:5], v[6:7] offset1:96
	ds_write2_b64 v99, v[8:9], v[10:11] offset0:64 offset1:160
	ds_write2_b64 v79, v[30:31], v[34:35] offset0:128 offset1:224
	;; [unrolled: 1-line block ×4, first 2 shown]
	ds_write_b64 v240, v[24:25] offset:20736
	ds_write2_b64 v189, v[12:13], v[14:15] offset0:128 offset1:224
	ds_write2_b64 v96, v[0:1], v[2:3] offset0:64 offset1:160
	;; [unrolled: 1-line block ×3, first 2 shown]
	s_waitcnt lgkmcnt(0)
	s_barrier
	ds_read2_b64 v[10:13], v240 offset1:96
	v_accvgpr_read_b32 v2, a44
	v_accvgpr_read_b32 v3, a45
	;; [unrolled: 1-line block ×4, first 2 shown]
	s_waitcnt lgkmcnt(0)
	v_mul_f32_e32 v0, v3, v11
	v_fmac_f32_e32 v0, v2, v10
	v_cvt_f64_f32_e32 v[0:1], v0
	v_mul_f64 v[0:1], v[0:1], s[2:3]
	v_cvt_f32_f64_e32 v0, v[0:1]
	v_mul_f32_e32 v1, v3, v10
	v_fma_f32 v1, v2, v11, -v1
	v_cvt_f64_f32_e32 v[2:3], v1
	v_mul_f64 v[2:3], v[2:3], s[2:3]
	v_cvt_f32_f64_e32 v1, v[2:3]
	v_mad_u64_u32 v[2:3], s[4:5], s0, v180, 0
	v_mov_b32_e32 v4, v3
	v_mad_u64_u32 v[4:5], s[4:5], s1, v180, v[4:5]
	v_mov_b32_e32 v3, v4
	v_accvgpr_read_b32 v4, a14
	v_accvgpr_read_b32 v5, a15
	v_lshl_add_u64 v[30:31], v[6:7], 3, v[4:5]
	v_lshl_add_u64 v[4:5], v[2:3], 3, v[30:31]
	global_store_dwordx2 v[4:5], v[0:1], off
	ds_read2_b64 v[0:3], v95 offset0:64 offset1:160
	v_accvgpr_read_b32 v8, a42
	v_accvgpr_read_b32 v9, a43
	ds_read2_b64 v[14:17], v55 offset0:64 offset1:160
	v_accvgpr_read_b32 v10, a38
	s_waitcnt lgkmcnt(1)
	v_mul_f32_e32 v6, v9, v3
	v_fmac_f32_e32 v6, v8, v2
	v_mul_f32_e32 v2, v9, v2
	v_fma_f32 v2, v8, v3, -v2
	v_cvt_f64_f32_e32 v[6:7], v6
	v_cvt_f64_f32_e32 v[2:3], v2
	v_mul_f64 v[6:7], v[6:7], s[2:3]
	v_mul_f64 v[2:3], v[2:3], s[2:3]
	v_cvt_f32_f64_e32 v6, v[6:7]
	v_cvt_f32_f64_e32 v7, v[2:3]
	v_mad_u64_u32 v[2:3], s[4:5], s0, v200, v[4:5]
	s_mul_i32 s4, s1, 0x900
	s_nop 0
	v_add_u32_e32 v3, s4, v3
	global_store_dwordx2 v[2:3], v[6:7], off
	v_accvgpr_read_b32 v6, a40
	v_accvgpr_read_b32 v7, a41
	s_waitcnt lgkmcnt(0)
	v_mul_f32_e32 v4, v7, v15
	v_fmac_f32_e32 v4, v6, v14
	v_cvt_f64_f32_e32 v[4:5], v4
	v_mul_f64 v[4:5], v[4:5], s[2:3]
	v_cvt_f32_f64_e32 v4, v[4:5]
	v_mul_f32_e32 v5, v7, v14
	v_fma_f32 v5, v6, v15, -v5
	v_cvt_f64_f32_e32 v[6:7], v5
	v_mul_f64 v[6:7], v[6:7], s[2:3]
	v_cvt_f32_f64_e32 v5, v[6:7]
	v_mad_u64_u32 v[6:7], s[6:7], s0, v200, v[2:3]
	v_add_u32_e32 v7, s4, v7
	global_store_dwordx2 v[6:7], v[4:5], off
	ds_read2_b64 v[2:5], v201 offset1:96
	v_accvgpr_read_b32 v11, a39
	ds_read2_b64 v[18:21], v189 offset0:128 offset1:224
	v_accvgpr_read_b32 v14, a36
	v_accvgpr_read_b32 v15, a37
	s_waitcnt lgkmcnt(1)
	v_mul_f32_e32 v8, v11, v5
	v_fmac_f32_e32 v8, v10, v4
	v_mul_f32_e32 v4, v11, v4
	v_fma_f32 v4, v10, v5, -v4
	v_cvt_f64_f32_e32 v[8:9], v8
	v_cvt_f64_f32_e32 v[4:5], v4
	v_mad_u64_u32 v[10:11], s[6:7], s0, v200, v[6:7]
	v_accvgpr_read_b32 v6, a32
	v_mul_f64 v[8:9], v[8:9], s[2:3]
	v_mul_f64 v[4:5], v[4:5], s[2:3]
	v_accvgpr_read_b32 v7, a33
	v_cvt_f32_f64_e32 v8, v[8:9]
	v_cvt_f32_f64_e32 v9, v[4:5]
	s_waitcnt lgkmcnt(0)
	v_mul_f32_e32 v4, v7, v19
	v_fmac_f32_e32 v4, v6, v18
	v_cvt_f64_f32_e32 v[4:5], v4
	v_mul_f64 v[4:5], v[4:5], s[2:3]
	v_cvt_f32_f64_e32 v4, v[4:5]
	v_mul_f32_e32 v5, v7, v18
	v_fma_f32 v5, v6, v19, -v5
	v_add_u32_e32 v11, s4, v11
	v_cvt_f64_f32_e32 v[6:7], v5
	global_store_dwordx2 v[10:11], v[8:9], off
	v_mul_f64 v[6:7], v[6:7], s[2:3]
	v_accvgpr_read_b32 v9, a71
	v_cvt_f32_f64_e32 v5, v[6:7]
	v_mad_u64_u32 v[6:7], s[6:7], s0, v9, 0
	v_mov_b32_e32 v8, v7
	v_mad_u64_u32 v[8:9], s[6:7], s1, v9, v[8:9]
	v_mov_b32_e32 v7, v8
	v_lshl_add_u64 v[6:7], v[6:7], 3, v[30:31]
	global_store_dwordx2 v[6:7], v[4:5], off
	ds_read2_b64 v[4:7], v96 offset0:64 offset1:160
	ds_read2_b64 v[22:25], v99 offset0:64 offset1:160
	s_mul_i32 s5, s1, 0x1200
	v_accvgpr_read_b32 v18, a22
	v_accvgpr_read_b32 v19, a23
	s_waitcnt lgkmcnt(1)
	v_mul_f32_e32 v8, v15, v7
	v_fmac_f32_e32 v8, v14, v6
	v_mul_f32_e32 v6, v15, v6
	v_fma_f32 v6, v14, v7, -v6
	v_cvt_f64_f32_e32 v[8:9], v8
	v_cvt_f64_f32_e32 v[6:7], v6
	v_mul_f64 v[8:9], v[8:9], s[2:3]
	v_mul_f64 v[6:7], v[6:7], s[2:3]
	v_cvt_f32_f64_e32 v8, v[8:9]
	v_cvt_f32_f64_e32 v9, v[6:7]
	v_mov_b32_e32 v6, 0x1200
	v_mad_u64_u32 v[6:7], s[6:7], s0, v6, v[10:11]
	v_accvgpr_read_b32 v10, a28
	v_add_u32_e32 v7, s5, v7
	v_accvgpr_read_b32 v11, a29
	global_store_dwordx2 v[6:7], v[8:9], off
	s_waitcnt lgkmcnt(0)
	v_mul_f32_e32 v8, v11, v23
	v_fmac_f32_e32 v8, v10, v22
	v_cvt_f64_f32_e32 v[8:9], v8
	v_mul_f64 v[8:9], v[8:9], s[2:3]
	v_cvt_f32_f64_e32 v8, v[8:9]
	v_mul_f32_e32 v9, v11, v22
	v_fma_f32 v9, v10, v23, -v9
	v_cvt_f64_f32_e32 v[10:11], v9
	v_mul_f64 v[10:11], v[10:11], s[2:3]
	v_cvt_f32_f64_e32 v9, v[10:11]
	v_mad_u64_u32 v[10:11], s[6:7], s0, v200, v[6:7]
	v_add_u32_e32 v11, s4, v11
	global_store_dwordx2 v[10:11], v[8:9], off
	ds_read2_b64 v[6:9], v79 offset0:128 offset1:224
	ds_read2_b64 v[26:29], v181 offset1:96
	v_accvgpr_read_b32 v23, a11
	v_accvgpr_read_b32 v22, a10
	s_waitcnt lgkmcnt(1)
	v_mul_f32_e32 v14, v19, v9
	v_fmac_f32_e32 v14, v18, v8
	v_mul_f32_e32 v8, v19, v8
	v_fma_f32 v8, v18, v9, -v8
	v_cvt_f64_f32_e32 v[14:15], v14
	v_cvt_f64_f32_e32 v[8:9], v8
	v_mad_u64_u32 v[18:19], s[6:7], s0, v200, v[10:11]
	v_accvgpr_read_b32 v10, a18
	v_mul_f64 v[14:15], v[14:15], s[2:3]
	v_mul_f64 v[8:9], v[8:9], s[2:3]
	v_accvgpr_read_b32 v11, a19
	v_cvt_f32_f64_e32 v14, v[14:15]
	v_cvt_f32_f64_e32 v15, v[8:9]
	s_waitcnt lgkmcnt(0)
	v_mul_f32_e32 v8, v11, v27
	v_fmac_f32_e32 v8, v10, v26
	v_cvt_f64_f32_e32 v[8:9], v8
	v_mul_f64 v[8:9], v[8:9], s[2:3]
	v_cvt_f32_f64_e32 v8, v[8:9]
	v_mul_f32_e32 v9, v11, v26
	v_fma_f32 v9, v10, v27, -v9
	v_add_u32_e32 v19, s4, v19
	v_cvt_f64_f32_e32 v[10:11], v9
	global_store_dwordx2 v[18:19], v[14:15], off
	v_mul_f64 v[10:11], v[10:11], s[2:3]
	v_accvgpr_read_b32 v15, a16
	v_cvt_f32_f64_e32 v9, v[10:11]
	v_mad_u64_u32 v[10:11], s[6:7], s0, v15, 0
	v_mov_b32_e32 v14, v11
	v_mad_u64_u32 v[14:15], s[6:7], s1, v15, v[14:15]
	v_mov_b32_e32 v11, v14
	v_lshl_add_u64 v[10:11], v[10:11], 3, v[30:31]
	global_store_dwordx2 v[10:11], v[8:9], off
	ds_read2_b64 v[8:11], v94 offset0:64 offset1:160
	v_mov_b32_e32 v26, 0x1200
	s_waitcnt lgkmcnt(0)
	v_mul_f32_e32 v14, v23, v11
	v_fmac_f32_e32 v14, v22, v10
	v_mul_f32_e32 v10, v23, v10
	v_fma_f32 v10, v22, v11, -v10
	v_cvt_f64_f32_e32 v[14:15], v14
	v_cvt_f64_f32_e32 v[10:11], v10
	v_mul_f64 v[14:15], v[14:15], s[2:3]
	v_mul_f64 v[10:11], v[10:11], s[2:3]
	v_cvt_f32_f64_e32 v14, v[14:15]
	v_cvt_f32_f64_e32 v15, v[10:11]
	v_mad_u64_u32 v[10:11], s[6:7], s0, v26, v[18:19]
	v_accvgpr_read_b32 v18, a46
	v_add_u32_e32 v11, s5, v11
	v_accvgpr_read_b32 v19, a47
	global_store_dwordx2 v[10:11], v[14:15], off
	v_mul_f32_e32 v14, v19, v13
	v_fmac_f32_e32 v14, v18, v12
	v_mul_f32_e32 v12, v19, v12
	v_fma_f32 v12, v18, v13, -v12
	v_cvt_f64_f32_e32 v[14:15], v14
	v_cvt_f64_f32_e32 v[12:13], v12
	v_mul_f64 v[14:15], v[14:15], s[2:3]
	v_mul_f64 v[12:13], v[12:13], s[2:3]
	v_cvt_f32_f64_e32 v14, v[14:15]
	v_cvt_f32_f64_e32 v15, v[12:13]
	v_mov_b32_e32 v12, 0xffffb200
	v_mad_u64_u32 v[18:19], s[6:7], s0, v12, v[10:11]
	ds_read2_b64 v[10:13], v241 offset0:128 offset1:224
	s_mul_i32 s6, s1, 0xffffb200
	s_sub_i32 s6, s6, s0
	v_accvgpr_read_b32 v22, a34
	v_add_u32_e32 v19, s6, v19
	v_accvgpr_read_b32 v23, a35
	global_store_dwordx2 v[18:19], v[14:15], off
	s_waitcnt lgkmcnt(0)
	v_mul_f32_e32 v14, v23, v11
	v_fmac_f32_e32 v14, v22, v10
	v_mul_f32_e32 v10, v23, v10
	v_fma_f32 v10, v22, v11, -v10
	v_cvt_f64_f32_e32 v[14:15], v14
	v_cvt_f64_f32_e32 v[10:11], v10
	v_mul_f64 v[14:15], v[14:15], s[2:3]
	v_mul_f64 v[10:11], v[10:11], s[2:3]
	v_accvgpr_read_b32 v23, a68
	v_cvt_f32_f64_e32 v14, v[14:15]
	v_cvt_f32_f64_e32 v15, v[10:11]
	v_mad_u64_u32 v[10:11], s[6:7], s0, v23, 0
	v_mov_b32_e32 v22, v11
	v_mad_u64_u32 v[22:23], s[6:7], s1, v23, v[22:23]
	v_mov_b32_e32 v11, v22
	v_lshl_add_u64 v[10:11], v[10:11], 3, v[30:31]
	global_store_dwordx2 v[10:11], v[14:15], off
	v_accvgpr_read_b32 v14, a30
	v_accvgpr_read_b32 v15, a31
	v_mul_f32_e32 v10, v15, v17
	v_fmac_f32_e32 v10, v14, v16
	v_cvt_f64_f32_e32 v[10:11], v10
	v_mul_f64 v[10:11], v[10:11], s[2:3]
	v_cvt_f32_f64_e32 v10, v[10:11]
	v_mul_f32_e32 v11, v15, v16
	v_fma_f32 v11, v14, v17, -v11
	v_cvt_f64_f32_e32 v[14:15], v11
	v_mul_f64 v[14:15], v[14:15], s[2:3]
	v_cvt_f32_f64_e32 v11, v[14:15]
	ds_read2_b64 v[14:17], v119 offset0:64 offset1:160
	v_mad_u64_u32 v[18:19], s[6:7], s0, v26, v[18:19]
	v_accvgpr_read_b32 v22, a24
	v_add_u32_e32 v19, s5, v19
	v_accvgpr_read_b32 v23, a25
	global_store_dwordx2 v[18:19], v[10:11], off
	s_waitcnt lgkmcnt(0)
	v_mul_f32_e32 v10, v23, v15
	v_fmac_f32_e32 v10, v22, v14
	v_cvt_f64_f32_e32 v[10:11], v10
	v_mul_f64 v[10:11], v[10:11], s[2:3]
	v_cvt_f32_f64_e32 v10, v[10:11]
	v_mul_f32_e32 v11, v23, v14
	v_fma_f32 v11, v22, v15, -v11
	v_cvt_f64_f32_e32 v[14:15], v11
	v_mul_f64 v[14:15], v[14:15], s[2:3]
	v_cvt_f32_f64_e32 v11, v[14:15]
	v_mad_u64_u32 v[14:15], s[6:7], s0, v200, v[18:19]
	v_accvgpr_read_b32 v18, a20
	v_add_u32_e32 v15, s4, v15
	v_accvgpr_read_b32 v19, a21
	global_store_dwordx2 v[14:15], v[10:11], off
	v_mul_f32_e32 v10, v19, v21
	v_fmac_f32_e32 v10, v18, v20
	v_cvt_f64_f32_e32 v[10:11], v10
	v_mul_f64 v[10:11], v[10:11], s[2:3]
	v_cvt_f32_f64_e32 v10, v[10:11]
	v_mul_f32_e32 v11, v19, v20
	v_fma_f32 v11, v18, v21, -v11
	v_cvt_f64_f32_e32 v[18:19], v11
	v_mul_f64 v[18:19], v[18:19], s[2:3]
	v_cvt_f32_f64_e32 v11, v[18:19]
	ds_read2_b64 v[18:21], v185 offset1:96
	v_mad_u64_u32 v[14:15], s[6:7], s0, v200, v[14:15]
	v_add_u32_e32 v15, s4, v15
	v_accvgpr_read_b32 v23, a13
	global_store_dwordx2 v[14:15], v[10:11], off
	v_accvgpr_read_b32 v22, a12
	s_waitcnt lgkmcnt(0)
	v_mul_f32_e32 v10, v23, v19
	v_fmac_f32_e32 v10, v22, v18
	v_cvt_f64_f32_e32 v[10:11], v10
	v_mul_f64 v[10:11], v[10:11], s[2:3]
	v_cvt_f32_f64_e32 v10, v[10:11]
	v_mul_f32_e32 v11, v23, v18
	v_fma_f32 v11, v22, v19, -v11
	v_cvt_f64_f32_e32 v[18:19], v11
	v_mul_f64 v[18:19], v[18:19], s[2:3]
	v_accvgpr_read_b32 v23, a1
	v_cvt_f32_f64_e32 v11, v[18:19]
	v_mad_u64_u32 v[18:19], s[6:7], s0, v23, 0
	v_mov_b32_e32 v22, v19
	v_mad_u64_u32 v[22:23], s[6:7], s1, v23, v[22:23]
	v_mov_b32_e32 v19, v22
	v_lshl_add_u64 v[18:19], v[18:19], 3, v[30:31]
	global_store_dwordx2 v[18:19], v[10:11], off
	v_accvgpr_read_b32 v19, a9
	v_accvgpr_read_b32 v18, a8
	v_mul_f32_e32 v10, v19, v25
	v_fmac_f32_e32 v10, v18, v24
	v_cvt_f64_f32_e32 v[10:11], v10
	v_mul_f64 v[10:11], v[10:11], s[2:3]
	v_cvt_f32_f64_e32 v10, v[10:11]
	v_mul_f32_e32 v11, v19, v24
	v_fma_f32 v11, v18, v25, -v11
	ds_read2_b64 v[22:25], v97 offset0:64 offset1:160
	v_cvt_f64_f32_e32 v[18:19], v11
	v_mul_f64 v[18:19], v[18:19], s[2:3]
	v_mad_u64_u32 v[14:15], s[6:7], s0, v32, v[14:15]
	v_cvt_f32_f64_e32 v11, v[18:19]
	v_add_u32_e32 v15, s5, v15
	v_accvgpr_read_b32 v19, a7
	global_store_dwordx2 v[14:15], v[10:11], off
	v_accvgpr_read_b32 v18, a6
	s_waitcnt lgkmcnt(0)
	v_mul_f32_e32 v10, v19, v23
	v_fmac_f32_e32 v10, v18, v22
	v_cvt_f64_f32_e32 v[10:11], v10
	v_mul_f64 v[10:11], v[10:11], s[2:3]
	v_cvt_f32_f64_e32 v10, v[10:11]
	v_mul_f32_e32 v11, v19, v22
	v_fma_f32 v11, v18, v23, -v11
	v_cvt_f64_f32_e32 v[18:19], v11
	v_mul_f64 v[18:19], v[18:19], s[2:3]
	v_mad_u64_u32 v[14:15], s[6:7], s0, v200, v[14:15]
	v_cvt_f32_f64_e32 v11, v[18:19]
	v_add_u32_e32 v15, s4, v15
	v_accvgpr_read_b32 v19, a5
	global_store_dwordx2 v[14:15], v[10:11], off
	v_accvgpr_read_b32 v18, a4
	v_mul_f32_e32 v10, v19, v29
	v_fmac_f32_e32 v10, v18, v28
	v_cvt_f64_f32_e32 v[10:11], v10
	v_mul_f64 v[10:11], v[10:11], s[2:3]
	v_cvt_f32_f64_e32 v10, v[10:11]
	v_mul_f32_e32 v11, v19, v28
	v_fma_f32 v11, v18, v29, -v11
	ds_read2_b64 v[26:29], v251 offset0:128 offset1:224
	v_cvt_f64_f32_e32 v[18:19], v11
	v_mul_f64 v[18:19], v[18:19], s[2:3]
	v_mad_u64_u32 v[14:15], s[6:7], s0, v200, v[14:15]
	v_cvt_f32_f64_e32 v11, v[18:19]
	v_add_u32_e32 v15, s4, v15
	v_accvgpr_read_b32 v19, a3
	global_store_dwordx2 v[14:15], v[10:11], off
	v_accvgpr_read_b32 v18, a2
	s_waitcnt lgkmcnt(0)
	v_mul_f32_e32 v10, v19, v27
	v_fmac_f32_e32 v10, v18, v26
	v_cvt_f64_f32_e32 v[10:11], v10
	v_mul_f64 v[10:11], v[10:11], s[2:3]
	v_cvt_f32_f64_e32 v10, v[10:11]
	v_mul_f32_e32 v11, v19, v26
	v_fma_f32 v11, v18, v27, -v11
	v_cvt_f64_f32_e32 v[18:19], v11
	v_mul_f64 v[18:19], v[18:19], s[2:3]
	v_accvgpr_read_b32 v23, a0
	v_cvt_f32_f64_e32 v11, v[18:19]
	v_mad_u64_u32 v[18:19], s[6:7], s0, v23, 0
	v_mov_b32_e32 v22, v19
	v_mad_u64_u32 v[22:23], s[6:7], s1, v23, v[22:23]
	v_mov_b32_e32 v19, v22
	v_lshl_add_u64 v[18:19], v[18:19], 3, v[30:31]
	global_store_dwordx2 v[18:19], v[10:11], off
	v_accvgpr_read_b32 v18, a54
	v_accvgpr_read_b32 v19, a55
	v_mul_f32_e32 v10, v19, v1
	v_fmac_f32_e32 v10, v18, v0
	v_mul_f32_e32 v0, v19, v0
	v_fma_f32 v0, v18, v1, -v0
	v_cvt_f64_f32_e32 v[10:11], v10
	v_cvt_f64_f32_e32 v[0:1], v0
	v_mul_f64 v[10:11], v[10:11], s[2:3]
	v_mul_f64 v[0:1], v[0:1], s[2:3]
	v_cvt_f32_f64_e32 v10, v[10:11]
	v_cvt_f32_f64_e32 v11, v[0:1]
	v_mov_b32_e32 v0, 0xffffbb00
	v_mad_u64_u32 v[0:1], s[6:7], s0, v0, v[14:15]
	s_mul_i32 s6, s1, 0xffffbb00
	s_sub_i32 s6, s6, s0
	v_accvgpr_read_b32 v14, a52
	v_add_u32_e32 v1, s6, v1
	v_accvgpr_read_b32 v15, a53
	global_store_dwordx2 v[0:1], v[10:11], off
	v_mul_f32_e32 v10, v15, v13
	v_fmac_f32_e32 v10, v14, v12
	v_cvt_f64_f32_e32 v[10:11], v10
	v_mul_f64 v[10:11], v[10:11], s[2:3]
	v_cvt_f32_f64_e32 v10, v[10:11]
	v_mul_f32_e32 v11, v15, v12
	v_fma_f32 v11, v14, v13, -v11
	v_cvt_f64_f32_e32 v[12:13], v11
	v_mul_f64 v[12:13], v[12:13], s[2:3]
	v_cvt_f32_f64_e32 v11, v[12:13]
	v_mad_u64_u32 v[0:1], s[6:7], s0, v200, v[0:1]
	v_accvgpr_read_b32 v12, a50
	v_add_u32_e32 v1, s4, v1
	v_accvgpr_read_b32 v13, a51
	global_store_dwordx2 v[0:1], v[10:11], off
	v_mul_f32_e32 v10, v13, v3
	v_fmac_f32_e32 v10, v12, v2
	v_mul_f32_e32 v2, v13, v2
	v_fma_f32 v2, v12, v3, -v2
	v_cvt_f64_f32_e32 v[10:11], v10
	v_cvt_f64_f32_e32 v[2:3], v2
	v_mul_f64 v[10:11], v[10:11], s[2:3]
	v_mul_f64 v[2:3], v[2:3], s[2:3]
	v_accvgpr_read_b32 v13, a69
	v_cvt_f32_f64_e32 v10, v[10:11]
	v_cvt_f32_f64_e32 v11, v[2:3]
	v_mad_u64_u32 v[2:3], s[6:7], s0, v13, 0
	v_mov_b32_e32 v12, v3
	v_mad_u64_u32 v[12:13], s[6:7], s1, v13, v[12:13]
	v_mov_b32_e32 v3, v12
	v_lshl_add_u64 v[2:3], v[2:3], 3, v[30:31]
	global_store_dwordx2 v[2:3], v[10:11], off
	v_accvgpr_read_b32 v10, a48
	v_accvgpr_read_b32 v11, a49
	v_mul_f32_e32 v2, v11, v17
	v_fmac_f32_e32 v2, v10, v16
	v_cvt_f64_f32_e32 v[2:3], v2
	v_mul_f64 v[2:3], v[2:3], s[2:3]
	v_cvt_f32_f64_e32 v2, v[2:3]
	v_mul_f32_e32 v3, v11, v16
	v_fma_f32 v3, v10, v17, -v3
	v_cvt_f64_f32_e32 v[10:11], v3
	v_mul_f64 v[10:11], v[10:11], s[2:3]
	v_cvt_f32_f64_e32 v3, v[10:11]
	v_mad_u64_u32 v[0:1], s[6:7], s0, v32, v[0:1]
	v_accvgpr_read_b32 v10, a56
	v_add_u32_e32 v1, s5, v1
	v_accvgpr_read_b32 v11, a57
	global_store_dwordx2 v[0:1], v[2:3], off
	v_mul_f32_e32 v2, v11, v5
	v_fmac_f32_e32 v2, v10, v4
	v_cvt_f64_f32_e32 v[2:3], v2
	v_mul_f64 v[2:3], v[2:3], s[2:3]
	v_cvt_f32_f64_e32 v2, v[2:3]
	v_mul_f32_e32 v3, v11, v4
	v_fma_f32 v3, v10, v5, -v3
	v_cvt_f64_f32_e32 v[4:5], v3
	v_mul_f64 v[4:5], v[4:5], s[2:3]
	v_cvt_f32_f64_e32 v3, v[4:5]
	v_mad_u64_u32 v[0:1], s[6:7], s0, v200, v[0:1]
	v_accvgpr_read_b32 v4, a64
	v_add_u32_e32 v1, s4, v1
	v_accvgpr_read_b32 v5, a65
	global_store_dwordx2 v[0:1], v[2:3], off
	;; [unrolled: 15-line block ×3, first 2 shown]
	v_mul_f32_e32 v2, v5, v7
	v_fmac_f32_e32 v2, v4, v6
	v_cvt_f64_f32_e32 v[2:3], v2
	v_mul_f64 v[2:3], v[2:3], s[2:3]
	v_cvt_f32_f64_e32 v2, v[2:3]
	v_mul_f32_e32 v3, v5, v6
	v_fma_f32 v3, v4, v7, -v3
	v_cvt_f64_f32_e32 v[4:5], v3
	v_mul_f64 v[4:5], v[4:5], s[2:3]
	v_accvgpr_read_b32 v7, a17
	v_cvt_f32_f64_e32 v3, v[4:5]
	v_mad_u64_u32 v[4:5], s[6:7], s0, v7, 0
	v_mov_b32_e32 v6, v5
	v_mad_u64_u32 v[6:7], s[6:7], s1, v7, v[6:7]
	v_mov_b32_e32 v5, v6
	v_lshl_add_u64 v[4:5], v[4:5], 3, v[30:31]
	global_store_dwordx2 v[4:5], v[2:3], off
	v_accvgpr_read_b32 v4, a60
	v_accvgpr_read_b32 v5, a61
	v_mul_f32_e32 v2, v5, v25
	v_fmac_f32_e32 v2, v4, v24
	v_cvt_f64_f32_e32 v[2:3], v2
	v_mul_f64 v[2:3], v[2:3], s[2:3]
	v_cvt_f32_f64_e32 v2, v[2:3]
	v_mul_f32_e32 v3, v5, v24
	v_fma_f32 v3, v4, v25, -v3
	v_cvt_f64_f32_e32 v[4:5], v3
	v_mul_f64 v[4:5], v[4:5], s[2:3]
	v_cvt_f32_f64_e32 v3, v[4:5]
	v_mad_u64_u32 v[0:1], s[6:7], s0, v32, v[0:1]
	v_accvgpr_read_b32 v4, a58
	v_add_u32_e32 v1, s5, v1
	v_accvgpr_read_b32 v5, a59
	global_store_dwordx2 v[0:1], v[2:3], off
	v_mul_f32_e32 v2, v5, v9
	v_fmac_f32_e32 v2, v4, v8
	v_cvt_f64_f32_e32 v[2:3], v2
	v_mul_f64 v[2:3], v[2:3], s[2:3]
	v_cvt_f32_f64_e32 v2, v[2:3]
	v_mul_f32_e32 v3, v5, v8
	v_fma_f32 v3, v4, v9, -v3
	v_cvt_f64_f32_e32 v[4:5], v3
	v_mul_f64 v[4:5], v[4:5], s[2:3]
	v_cvt_f32_f64_e32 v3, v[4:5]
	v_mad_u64_u32 v[0:1], s[6:7], s0, v200, v[0:1]
	v_accvgpr_read_b32 v4, a66
	v_add_u32_e32 v1, s4, v1
	v_accvgpr_read_b32 v5, a67
	global_store_dwordx2 v[0:1], v[2:3], off
	v_mul_f32_e32 v2, v5, v29
	v_fmac_f32_e32 v2, v4, v28
	v_cvt_f64_f32_e32 v[2:3], v2
	v_mul_f64 v[2:3], v[2:3], s[2:3]
	v_cvt_f32_f64_e32 v2, v[2:3]
	v_mul_f32_e32 v3, v5, v28
	v_fma_f32 v3, v4, v29, -v3
	v_cvt_f64_f32_e32 v[4:5], v3
	v_mul_f64 v[4:5], v[4:5], s[2:3]
	v_mad_u64_u32 v[0:1], s[0:1], s0, v200, v[0:1]
	v_cvt_f32_f64_e32 v3, v[4:5]
	v_add_u32_e32 v1, s4, v1
	global_store_dwordx2 v[0:1], v[2:3], off
.LBB0_2:
	s_endpgm
	.section	.rodata,"a",@progbits
	.p2align	6, 0x0
	.amdhsa_kernel bluestein_single_fwd_len2880_dim1_sp_op_CI_CI
		.amdhsa_group_segment_fixed_size 23040
		.amdhsa_private_segment_fixed_size 0
		.amdhsa_kernarg_size 104
		.amdhsa_user_sgpr_count 2
		.amdhsa_user_sgpr_dispatch_ptr 0
		.amdhsa_user_sgpr_queue_ptr 0
		.amdhsa_user_sgpr_kernarg_segment_ptr 1
		.amdhsa_user_sgpr_dispatch_id 0
		.amdhsa_user_sgpr_kernarg_preload_length 0
		.amdhsa_user_sgpr_kernarg_preload_offset 0
		.amdhsa_user_sgpr_private_segment_size 0
		.amdhsa_uses_dynamic_stack 0
		.amdhsa_enable_private_segment 0
		.amdhsa_system_sgpr_workgroup_id_x 1
		.amdhsa_system_sgpr_workgroup_id_y 0
		.amdhsa_system_sgpr_workgroup_id_z 0
		.amdhsa_system_sgpr_workgroup_info 0
		.amdhsa_system_vgpr_workitem_id 0
		.amdhsa_next_free_vgpr 426
		.amdhsa_next_free_sgpr 24
		.amdhsa_accum_offset 256
		.amdhsa_reserve_vcc 1
		.amdhsa_float_round_mode_32 0
		.amdhsa_float_round_mode_16_64 0
		.amdhsa_float_denorm_mode_32 3
		.amdhsa_float_denorm_mode_16_64 3
		.amdhsa_dx10_clamp 1
		.amdhsa_ieee_mode 1
		.amdhsa_fp16_overflow 0
		.amdhsa_tg_split 0
		.amdhsa_exception_fp_ieee_invalid_op 0
		.amdhsa_exception_fp_denorm_src 0
		.amdhsa_exception_fp_ieee_div_zero 0
		.amdhsa_exception_fp_ieee_overflow 0
		.amdhsa_exception_fp_ieee_underflow 0
		.amdhsa_exception_fp_ieee_inexact 0
		.amdhsa_exception_int_div_zero 0
	.end_amdhsa_kernel
	.text
.Lfunc_end0:
	.size	bluestein_single_fwd_len2880_dim1_sp_op_CI_CI, .Lfunc_end0-bluestein_single_fwd_len2880_dim1_sp_op_CI_CI
                                        ; -- End function
	.section	.AMDGPU.csdata,"",@progbits
; Kernel info:
; codeLenInByte = 31664
; NumSgprs: 30
; NumVgprs: 256
; NumAgprs: 170
; TotalNumVgprs: 426
; ScratchSize: 0
; MemoryBound: 0
; FloatMode: 240
; IeeeMode: 1
; LDSByteSize: 23040 bytes/workgroup (compile time only)
; SGPRBlocks: 3
; VGPRBlocks: 53
; NumSGPRsForWavesPerEU: 30
; NumVGPRsForWavesPerEU: 426
; AccumOffset: 256
; Occupancy: 1
; WaveLimiterHint : 1
; COMPUTE_PGM_RSRC2:SCRATCH_EN: 0
; COMPUTE_PGM_RSRC2:USER_SGPR: 2
; COMPUTE_PGM_RSRC2:TRAP_HANDLER: 0
; COMPUTE_PGM_RSRC2:TGID_X_EN: 1
; COMPUTE_PGM_RSRC2:TGID_Y_EN: 0
; COMPUTE_PGM_RSRC2:TGID_Z_EN: 0
; COMPUTE_PGM_RSRC2:TIDIG_COMP_CNT: 0
; COMPUTE_PGM_RSRC3_GFX90A:ACCUM_OFFSET: 63
; COMPUTE_PGM_RSRC3_GFX90A:TG_SPLIT: 0
	.text
	.p2alignl 6, 3212836864
	.fill 256, 4, 3212836864
	.type	__hip_cuid_e0bf1a74a3cee702,@object ; @__hip_cuid_e0bf1a74a3cee702
	.section	.bss,"aw",@nobits
	.globl	__hip_cuid_e0bf1a74a3cee702
__hip_cuid_e0bf1a74a3cee702:
	.byte	0                               ; 0x0
	.size	__hip_cuid_e0bf1a74a3cee702, 1

	.ident	"AMD clang version 19.0.0git (https://github.com/RadeonOpenCompute/llvm-project roc-6.4.0 25133 c7fe45cf4b819c5991fe208aaa96edf142730f1d)"
	.section	".note.GNU-stack","",@progbits
	.addrsig
	.addrsig_sym __hip_cuid_e0bf1a74a3cee702
	.amdgpu_metadata
---
amdhsa.kernels:
  - .agpr_count:     170
    .args:
      - .actual_access:  read_only
        .address_space:  global
        .offset:         0
        .size:           8
        .value_kind:     global_buffer
      - .actual_access:  read_only
        .address_space:  global
        .offset:         8
        .size:           8
        .value_kind:     global_buffer
      - .actual_access:  read_only
        .address_space:  global
        .offset:         16
        .size:           8
        .value_kind:     global_buffer
      - .actual_access:  read_only
        .address_space:  global
        .offset:         24
        .size:           8
        .value_kind:     global_buffer
      - .actual_access:  read_only
        .address_space:  global
        .offset:         32
        .size:           8
        .value_kind:     global_buffer
      - .offset:         40
        .size:           8
        .value_kind:     by_value
      - .address_space:  global
        .offset:         48
        .size:           8
        .value_kind:     global_buffer
      - .address_space:  global
        .offset:         56
        .size:           8
        .value_kind:     global_buffer
      - .address_space:  global
        .offset:         64
        .size:           8
        .value_kind:     global_buffer
      - .address_space:  global
        .offset:         72
        .size:           8
        .value_kind:     global_buffer
      - .offset:         80
        .size:           4
        .value_kind:     by_value
      - .address_space:  global
        .offset:         88
        .size:           8
        .value_kind:     global_buffer
      - .address_space:  global
        .offset:         96
        .size:           8
        .value_kind:     global_buffer
    .group_segment_fixed_size: 23040
    .kernarg_segment_align: 8
    .kernarg_segment_size: 104
    .language:       OpenCL C
    .language_version:
      - 2
      - 0
    .max_flat_workgroup_size: 96
    .name:           bluestein_single_fwd_len2880_dim1_sp_op_CI_CI
    .private_segment_fixed_size: 0
    .sgpr_count:     30
    .sgpr_spill_count: 0
    .symbol:         bluestein_single_fwd_len2880_dim1_sp_op_CI_CI.kd
    .uniform_work_group_size: 1
    .uses_dynamic_stack: false
    .vgpr_count:     426
    .vgpr_spill_count: 0
    .wavefront_size: 64
amdhsa.target:   amdgcn-amd-amdhsa--gfx950
amdhsa.version:
  - 1
  - 2
...

	.end_amdgpu_metadata
